;; amdgpu-corpus repo=pytorch/pytorch kind=compiled arch=gfx906 opt=O3
	.amdgcn_target "amdgcn-amd-amdhsa--gfx906"
	.amdhsa_code_object_version 6
	.section	.text._ZN2at6native21col2im_batched_kernelIdEEvlPKT_llllllllllllllPS2_l,"axG",@progbits,_ZN2at6native21col2im_batched_kernelIdEEvlPKT_llllllllllllllPS2_l,comdat
	.protected	_ZN2at6native21col2im_batched_kernelIdEEvlPKT_llllllllllllllPS2_l ; -- Begin function _ZN2at6native21col2im_batched_kernelIdEEvlPKT_llllllllllllllPS2_l
	.globl	_ZN2at6native21col2im_batched_kernelIdEEvlPKT_llllllllllllllPS2_l
	.p2align	8
	.type	_ZN2at6native21col2im_batched_kernelIdEEvlPKT_llllllllllllllPS2_l,@function
_ZN2at6native21col2im_batched_kernelIdEEvlPKT_llllllllllllllPS2_l: ; @_ZN2at6native21col2im_batched_kernelIdEEvlPKT_llllllllllllllPS2_l
; %bb.0:
	s_load_dwordx16 s[8:23], s[4:5], 0x0
	s_load_dword s2, s[4:5], 0x9c
	v_mov_b32_e32 v2, 0
	v_mov_b32_e32 v1, v2
	;; [unrolled: 1-line block ×3, first 2 shown]
	s_waitcnt lgkmcnt(0)
	s_mul_i32 s0, s14, s9
	s_mul_hi_u32 s1, s14, s8
	s_add_i32 s0, s1, s0
	s_mul_i32 s1, s15, s8
	s_add_i32 s7, s0, s1
	s_add_u32 s0, s4, 0x90
	s_addc_u32 s1, s5, 0
	s_and_b32 s2, s2, 0xffff
	v_mad_u64_u32 v[0:1], s[24:25], s2, v3, v[0:1]
	s_mul_i32 s6, s14, s8
	v_cmp_gt_i64_e32 vcc, s[6:7], v[0:1]
	s_and_saveexec_b64 s[14:15], vcc
	s_cbranch_execz .LBB0_59
; %bb.1:
	s_load_dwordx16 s[36:51], s[4:5], 0x40
	s_load_dwordx4 s[24:27], s[4:5], 0x80
	s_load_dword s3, s[0:1], 0x0
	s_mul_i32 s0, s18, s17
	s_mul_hi_u32 s1, s18, s16
	s_add_i32 s0, s1, s0
	s_mul_i32 s1, s19, s16
	s_add_i32 s33, s0, s1
	s_add_u32 s0, s22, -1
	s_addc_u32 s1, s23, -1
	s_waitcnt lgkmcnt(0)
	s_mul_i32 s1, s46, s1
	s_mul_hi_u32 s4, s46, s0
	s_add_i32 s1, s4, s1
	s_mul_i32 s4, s47, s0
	s_add_i32 s15, s1, s4
	s_mul_i32 s14, s46, s0
	s_add_u32 s0, s20, -1
	s_addc_u32 s1, s21, -1
	s_mul_i32 s1, s44, s1
	s_mul_hi_u32 s4, s44, s0
	s_add_i32 s1, s4, s1
	s_mul_i32 s4, s45, s0
	s_add_i32 s29, s1, s4
	s_mul_i32 s28, s44, s0
	s_mul_i32 s72, s18, s16
	s_not_b64 s[30:31], s[28:29]
	s_not_b64 s[34:35], s[14:15]
	s_mul_i32 s73, s3, s2
	s_lshl_b64 s[52:53], s[50:51], 3
	s_lshl_b64 s[12:13], s[12:13], 3
	s_mov_b64 s[54:55], 0
	s_branch .LBB0_4
.LBB0_2:                                ;   in Loop: Header=BB0_4 Depth=1
	s_or_b64 exec, exec, s[58:59]
.LBB0_3:                                ;   in Loop: Header=BB0_4 Depth=1
	s_or_b64 exec, exec, s[56:57]
	v_mul_lo_u32 v5, v5, s26
	v_mul_lo_u32 v8, v4, s27
	v_mad_u64_u32 v[3:4], s[0:1], v4, s26, 0
	v_add3_u32 v4, v4, v8, v5
	v_lshlrev_b64 v[3:4], 3, v[3:4]
	v_mov_b32_e32 v5, s25
	v_add_co_u32_e32 v8, vcc, s24, v3
	v_addc_co_u32_e32 v5, vcc, v5, v4, vcc
	v_add_co_u32_e32 v0, vcc, s73, v0
	v_lshlrev_b64 v[3:4], 3, v[6:7]
	v_addc_co_u32_e32 v1, vcc, 0, v1, vcc
	v_cmp_le_i64_e32 vcc, s[6:7], v[0:1]
	v_add_co_u32_e64 v3, s[0:1], v8, v3
	v_addc_co_u32_e64 v4, s[0:1], v5, v4, s[0:1]
	s_or_b64 s[54:55], vcc, s[54:55]
	global_store_dwordx2 v[3:4], v[24:25], off
	s_andn2_b64 exec, exec, s[54:55]
	s_cbranch_execz .LBB0_59
.LBB0_4:                                ; =>This Loop Header: Depth=1
                                        ;     Child Loop BB0_44 Depth 2
                                        ;       Child Loop BB0_52 Depth 3
	v_or_b32_e32 v3, s9, v1
	v_cmp_ne_u64_e32 vcc, 0, v[2:3]
                                        ; implicit-def: $vgpr4_vgpr5
	s_and_saveexec_b64 s[0:1], vcc
	s_xor_b64 s[2:3], exec, s[0:1]
	s_cbranch_execz .LBB0_6
; %bb.5:                                ;   in Loop: Header=BB0_4 Depth=1
	s_ashr_i32 s4, s9, 31
	s_add_u32 s0, s8, s4
	s_mov_b32 s5, s4
	s_addc_u32 s1, s9, s4
	s_xor_b64 s[56:57], s[0:1], s[4:5]
	v_cvt_f32_u32_e32 v3, s56
	v_cvt_f32_u32_e32 v4, s57
	s_sub_u32 s5, 0, s56
	s_subb_u32 s58, 0, s57
	v_ashrrev_i32_e32 v7, 31, v1
	v_mac_f32_e32 v3, 0x4f800000, v4
	v_rcp_f32_e32 v3, v3
	v_mul_f32_e32 v3, 0x5f7ffffc, v3
	v_mul_f32_e32 v4, 0x2f800000, v3
	v_trunc_f32_e32 v4, v4
	v_mac_f32_e32 v3, 0xcf800000, v4
	v_cvt_u32_f32_e32 v4, v4
	v_cvt_u32_f32_e32 v3, v3
	v_readfirstlane_b32 s59, v4
	v_readfirstlane_b32 s0, v3
	s_mul_i32 s1, s5, s59
	s_mul_hi_u32 s61, s5, s0
	s_mul_i32 s60, s58, s0
	s_add_i32 s1, s61, s1
	s_add_i32 s1, s1, s60
	s_mul_i32 s62, s5, s0
	s_mul_i32 s61, s0, s1
	s_mul_hi_u32 s63, s0, s62
	s_mul_hi_u32 s60, s0, s1
	s_add_u32 s61, s63, s61
	s_addc_u32 s60, 0, s60
	s_mul_hi_u32 s64, s59, s62
	s_mul_i32 s62, s59, s62
	s_add_u32 s61, s61, s62
	s_mul_hi_u32 s63, s59, s1
	s_addc_u32 s60, s60, s64
	s_addc_u32 s61, s63, 0
	s_mul_i32 s1, s59, s1
	s_add_u32 s1, s60, s1
	s_addc_u32 s60, 0, s61
	s_add_u32 s61, s0, s1
	s_cselect_b64 s[0:1], -1, 0
	s_cmp_lg_u64 s[0:1], 0
	s_addc_u32 s59, s59, s60
	s_mul_i32 s0, s5, s59
	s_mul_hi_u32 s1, s5, s61
	s_add_i32 s0, s1, s0
	s_mul_i32 s58, s58, s61
	s_add_i32 s0, s0, s58
	s_mul_i32 s5, s5, s61
	s_mul_hi_u32 s58, s59, s5
	s_mul_i32 s60, s59, s5
	s_mul_i32 s63, s61, s0
	s_mul_hi_u32 s5, s61, s5
	s_mul_hi_u32 s62, s61, s0
	s_add_u32 s5, s5, s63
	s_addc_u32 s62, 0, s62
	s_add_u32 s5, s5, s60
	s_mul_hi_u32 s1, s59, s0
	s_addc_u32 s5, s62, s58
	s_addc_u32 s1, s1, 0
	s_mul_i32 s0, s59, s0
	s_add_u32 s0, s5, s0
	s_addc_u32 s5, 0, s1
	s_add_u32 s58, s61, s0
	s_cselect_b64 s[0:1], -1, 0
	s_cmp_lg_u64 s[0:1], 0
	v_add_co_u32_e32 v3, vcc, v0, v7
	s_addc_u32 s5, s59, s5
	v_xor_b32_e32 v8, v3, v7
	v_mad_u64_u32 v[3:4], s[0:1], v8, s5, 0
	v_mul_hi_u32 v6, v8, s58
	v_addc_co_u32_e32 v5, vcc, v1, v7, vcc
	v_xor_b32_e32 v9, v5, v7
	v_add_co_u32_e32 v10, vcc, v6, v3
	v_addc_co_u32_e32 v11, vcc, 0, v4, vcc
	v_mad_u64_u32 v[3:4], s[0:1], v9, s58, 0
	v_mad_u64_u32 v[5:6], s[0:1], v9, s5, 0
	v_add_co_u32_e32 v3, vcc, v10, v3
	v_addc_co_u32_e32 v3, vcc, v11, v4, vcc
	v_addc_co_u32_e32 v4, vcc, 0, v6, vcc
	v_add_co_u32_e32 v5, vcc, v3, v5
	v_addc_co_u32_e32 v6, vcc, 0, v4, vcc
	v_mul_lo_u32 v10, s57, v5
	v_mul_lo_u32 v11, s56, v6
	v_mad_u64_u32 v[3:4], s[0:1], s56, v5, 0
	v_add3_u32 v4, v4, v11, v10
	v_sub_u32_e32 v10, v9, v4
	v_mov_b32_e32 v11, s57
	v_sub_co_u32_e32 v3, vcc, v8, v3
	v_subb_co_u32_e64 v8, s[0:1], v10, v11, vcc
	v_subrev_co_u32_e64 v10, s[0:1], s56, v3
	v_subbrev_co_u32_e64 v8, s[0:1], 0, v8, s[0:1]
	v_cmp_le_u32_e64 s[0:1], s57, v8
	v_cndmask_b32_e64 v11, 0, -1, s[0:1]
	v_cmp_le_u32_e64 s[0:1], s56, v10
	v_cndmask_b32_e64 v10, 0, -1, s[0:1]
	v_cmp_eq_u32_e64 s[0:1], s57, v8
	v_cndmask_b32_e64 v8, v11, v10, s[0:1]
	v_add_co_u32_e64 v10, s[0:1], 2, v5
	v_subb_co_u32_e32 v4, vcc, v9, v4, vcc
	v_addc_co_u32_e64 v11, s[0:1], 0, v6, s[0:1]
	v_cmp_le_u32_e32 vcc, s57, v4
	v_add_co_u32_e64 v12, s[0:1], 1, v5
	v_cndmask_b32_e64 v9, 0, -1, vcc
	v_cmp_le_u32_e32 vcc, s56, v3
	v_addc_co_u32_e64 v13, s[0:1], 0, v6, s[0:1]
	v_cndmask_b32_e64 v3, 0, -1, vcc
	v_cmp_eq_u32_e32 vcc, s57, v4
	v_cmp_ne_u32_e64 s[0:1], 0, v8
	v_cndmask_b32_e32 v3, v9, v3, vcc
	v_cmp_ne_u32_e32 vcc, 0, v3
	v_cndmask_b32_e64 v4, v12, v10, s[0:1]
	v_cndmask_b32_e64 v8, v13, v11, s[0:1]
	v_cndmask_b32_e32 v4, v5, v4, vcc
	v_xor_b32_e32 v5, s4, v7
	v_cndmask_b32_e32 v3, v6, v8, vcc
	v_xor_b32_e32 v4, v4, v5
	v_xor_b32_e32 v3, v3, v5
	v_sub_co_u32_e32 v4, vcc, v4, v5
	v_subb_co_u32_e32 v5, vcc, v3, v5, vcc
.LBB0_6:                                ;   in Loop: Header=BB0_4 Depth=1
	s_andn2_saveexec_b64 s[0:1], s[2:3]
	s_cbranch_execz .LBB0_8
; %bb.7:                                ;   in Loop: Header=BB0_4 Depth=1
	v_cvt_f32_u32_e32 v3, s8
	s_sub_i32 s2, 0, s8
	v_rcp_iflag_f32_e32 v3, v3
	v_mul_f32_e32 v3, 0x4f7ffffe, v3
	v_cvt_u32_f32_e32 v3, v3
	v_mul_lo_u32 v4, s2, v3
	v_mul_hi_u32 v4, v3, v4
	v_add_u32_e32 v3, v3, v4
	v_mul_hi_u32 v3, v0, v3
	v_mul_lo_u32 v4, v3, s8
	v_add_u32_e32 v5, 1, v3
	v_sub_u32_e32 v4, v0, v4
	v_subrev_u32_e32 v6, s8, v4
	v_cmp_le_u32_e32 vcc, s8, v4
	v_cndmask_b32_e32 v4, v4, v6, vcc
	v_cndmask_b32_e32 v3, v3, v5, vcc
	v_add_u32_e32 v5, 1, v3
	v_cmp_le_u32_e32 vcc, s8, v4
	v_cndmask_b32_e32 v4, v3, v5, vcc
	v_mov_b32_e32 v5, v2
.LBB0_8:                                ;   in Loop: Header=BB0_4 Depth=1
	s_or_b64 exec, exec, s[0:1]
	v_mul_lo_u32 v3, v5, s8
	v_mul_lo_u32 v6, v4, s9
	v_mad_u64_u32 v[8:9], s[0:1], v4, s8, 0
                                        ; implicit-def: $vgpr10_vgpr11
	v_add3_u32 v9, v9, v6, v3
	v_sub_co_u32_e32 v6, vcc, v0, v8
	v_subb_co_u32_e32 v7, vcc, v1, v9, vcc
	v_or_b32_e32 v3, s19, v7
	v_cmp_ne_u64_e32 vcc, 0, v[2:3]
	v_ashrrev_i32_e32 v16, 31, v7
	s_and_saveexec_b64 s[0:1], vcc
	s_xor_b64 s[2:3], exec, s[0:1]
	s_cbranch_execz .LBB0_10
; %bb.9:                                ;   in Loop: Header=BB0_4 Depth=1
	s_ashr_i32 s4, s19, 31
	s_add_u32 s0, s18, s4
	s_mov_b32 s5, s4
	s_addc_u32 s1, s19, s4
	s_xor_b64 s[56:57], s[0:1], s[4:5]
	v_cvt_f32_u32_e32 v3, s56
	v_cvt_f32_u32_e32 v10, s57
	s_sub_u32 s5, 0, s56
	s_subb_u32 s58, 0, s57
	v_mac_f32_e32 v3, 0x4f800000, v10
	v_rcp_f32_e32 v3, v3
	v_mul_f32_e32 v3, 0x5f7ffffc, v3
	v_mul_f32_e32 v10, 0x2f800000, v3
	v_trunc_f32_e32 v10, v10
	v_mac_f32_e32 v3, 0xcf800000, v10
	v_cvt_u32_f32_e32 v10, v10
	v_cvt_u32_f32_e32 v3, v3
	v_readfirstlane_b32 s59, v10
	v_readfirstlane_b32 s0, v3
	s_mul_i32 s1, s5, s59
	s_mul_hi_u32 s61, s5, s0
	s_mul_i32 s60, s58, s0
	s_add_i32 s1, s61, s1
	s_add_i32 s1, s1, s60
	s_mul_i32 s62, s5, s0
	s_mul_i32 s61, s0, s1
	s_mul_hi_u32 s63, s0, s62
	s_mul_hi_u32 s60, s0, s1
	s_add_u32 s61, s63, s61
	s_addc_u32 s60, 0, s60
	s_mul_hi_u32 s64, s59, s62
	s_mul_i32 s62, s59, s62
	s_add_u32 s61, s61, s62
	s_mul_hi_u32 s63, s59, s1
	s_addc_u32 s60, s60, s64
	s_addc_u32 s61, s63, 0
	s_mul_i32 s1, s59, s1
	s_add_u32 s1, s60, s1
	s_addc_u32 s60, 0, s61
	s_add_u32 s61, s0, s1
	s_cselect_b64 s[0:1], -1, 0
	s_cmp_lg_u64 s[0:1], 0
	s_addc_u32 s59, s59, s60
	s_mul_i32 s0, s5, s59
	s_mul_hi_u32 s1, s5, s61
	s_add_i32 s0, s1, s0
	s_mul_i32 s58, s58, s61
	s_add_i32 s0, s0, s58
	s_mul_i32 s5, s5, s61
	s_mul_hi_u32 s58, s59, s5
	s_mul_i32 s60, s59, s5
	s_mul_i32 s63, s61, s0
	s_mul_hi_u32 s5, s61, s5
	s_mul_hi_u32 s62, s61, s0
	s_add_u32 s5, s5, s63
	s_addc_u32 s62, 0, s62
	s_add_u32 s5, s5, s60
	s_mul_hi_u32 s1, s59, s0
	s_addc_u32 s5, s62, s58
	s_addc_u32 s1, s1, 0
	s_mul_i32 s0, s59, s0
	s_add_u32 s0, s5, s0
	s_addc_u32 s5, 0, s1
	s_add_u32 s58, s61, s0
	s_cselect_b64 s[0:1], -1, 0
	s_cmp_lg_u64 s[0:1], 0
	v_add_co_u32_e32 v3, vcc, v6, v16
	s_addc_u32 s5, s59, s5
	v_xor_b32_e32 v3, v3, v16
	v_mad_u64_u32 v[10:11], s[0:1], v3, s5, 0
	v_mul_hi_u32 v13, v3, s58
	v_addc_co_u32_e32 v12, vcc, v7, v16, vcc
	v_xor_b32_e32 v14, v12, v16
	v_add_co_u32_e32 v15, vcc, v13, v10
	v_addc_co_u32_e32 v17, vcc, 0, v11, vcc
	v_mad_u64_u32 v[10:11], s[0:1], v14, s58, 0
	v_mad_u64_u32 v[12:13], s[0:1], v14, s5, 0
	v_add_co_u32_e32 v10, vcc, v15, v10
	v_addc_co_u32_e32 v10, vcc, v17, v11, vcc
	v_addc_co_u32_e32 v11, vcc, 0, v13, vcc
	v_add_co_u32_e32 v12, vcc, v10, v12
	v_addc_co_u32_e32 v13, vcc, 0, v11, vcc
	v_mul_lo_u32 v15, s57, v12
	v_mul_lo_u32 v17, s56, v13
	v_mad_u64_u32 v[10:11], s[0:1], s56, v12, 0
	v_add3_u32 v11, v11, v17, v15
	v_sub_u32_e32 v15, v14, v11
	v_mov_b32_e32 v17, s57
	v_sub_co_u32_e32 v3, vcc, v3, v10
	v_subb_co_u32_e64 v10, s[0:1], v15, v17, vcc
	v_subrev_co_u32_e64 v15, s[0:1], s56, v3
	v_subbrev_co_u32_e64 v10, s[0:1], 0, v10, s[0:1]
	v_cmp_le_u32_e64 s[0:1], s57, v10
	v_cndmask_b32_e64 v17, 0, -1, s[0:1]
	v_cmp_le_u32_e64 s[0:1], s56, v15
	v_cndmask_b32_e64 v15, 0, -1, s[0:1]
	v_cmp_eq_u32_e64 s[0:1], s57, v10
	v_cndmask_b32_e64 v10, v17, v15, s[0:1]
	v_add_co_u32_e64 v15, s[0:1], 2, v12
	v_subb_co_u32_e32 v11, vcc, v14, v11, vcc
	v_addc_co_u32_e64 v17, s[0:1], 0, v13, s[0:1]
	v_cmp_le_u32_e32 vcc, s57, v11
	v_add_co_u32_e64 v18, s[0:1], 1, v12
	v_cndmask_b32_e64 v14, 0, -1, vcc
	v_cmp_le_u32_e32 vcc, s56, v3
	v_addc_co_u32_e64 v19, s[0:1], 0, v13, s[0:1]
	v_cndmask_b32_e64 v3, 0, -1, vcc
	v_cmp_eq_u32_e32 vcc, s57, v11
	v_cmp_ne_u32_e64 s[0:1], 0, v10
	v_cndmask_b32_e32 v3, v14, v3, vcc
	v_cndmask_b32_e64 v10, v19, v17, s[0:1]
	v_cmp_ne_u32_e32 vcc, 0, v3
	v_cndmask_b32_e32 v3, v13, v10, vcc
	v_cndmask_b32_e64 v10, v18, v15, s[0:1]
	v_cndmask_b32_e32 v10, v12, v10, vcc
	v_xor_b32_e32 v11, s4, v16
	v_xor_b32_e32 v10, v10, v11
	;; [unrolled: 1-line block ×3, first 2 shown]
	v_sub_co_u32_e32 v10, vcc, v10, v11
	v_subb_co_u32_e32 v11, vcc, v3, v11, vcc
.LBB0_10:                               ;   in Loop: Header=BB0_4 Depth=1
	s_andn2_saveexec_b64 s[0:1], s[2:3]
	s_cbranch_execz .LBB0_12
; %bb.11:                               ;   in Loop: Header=BB0_4 Depth=1
	v_cvt_f32_u32_e32 v3, s18
	s_sub_i32 s2, 0, s18
	v_rcp_iflag_f32_e32 v3, v3
	v_mul_f32_e32 v3, 0x4f7ffffe, v3
	v_cvt_u32_f32_e32 v3, v3
	v_mul_lo_u32 v10, s2, v3
	v_mul_hi_u32 v10, v3, v10
	v_add_u32_e32 v3, v3, v10
	v_mul_hi_u32 v3, v6, v3
	v_mul_lo_u32 v10, v3, s18
	v_add_u32_e32 v11, 1, v3
	v_sub_u32_e32 v10, v6, v10
	v_subrev_u32_e32 v12, s18, v10
	v_cmp_le_u32_e32 vcc, s18, v10
	v_cndmask_b32_e32 v10, v10, v12, vcc
	v_cndmask_b32_e32 v3, v3, v11, vcc
	v_add_u32_e32 v11, 1, v3
	v_cmp_le_u32_e32 vcc, s18, v10
	v_cndmask_b32_e32 v10, v3, v11, vcc
	v_mov_b32_e32 v11, v2
.LBB0_12:                               ;   in Loop: Header=BB0_4 Depth=1
	s_or_b64 exec, exec, s[0:1]
	v_or_b32_e32 v3, s17, v11
	v_cmp_ne_u64_e32 vcc, 0, v[2:3]
                                        ; implicit-def: $vgpr12_vgpr13
	s_and_saveexec_b64 s[0:1], vcc
	s_xor_b64 s[4:5], exec, s[0:1]
	s_cbranch_execz .LBB0_14
; %bb.13:                               ;   in Loop: Header=BB0_4 Depth=1
	s_ashr_i32 s0, s17, 31
	s_add_u32 s2, s16, s0
	s_mov_b32 s1, s0
	s_addc_u32 s3, s17, s0
	s_xor_b64 s[56:57], s[2:3], s[0:1]
	v_cvt_f32_u32_e32 v3, s56
	v_cvt_f32_u32_e32 v12, s57
	s_sub_u32 s2, 0, s56
	s_subb_u32 s3, 0, s57
	v_mac_f32_e32 v3, 0x4f800000, v12
	v_rcp_f32_e32 v3, v3
	v_mul_f32_e32 v3, 0x5f7ffffc, v3
	v_mul_f32_e32 v12, 0x2f800000, v3
	v_trunc_f32_e32 v12, v12
	v_mac_f32_e32 v3, 0xcf800000, v12
	v_cvt_u32_f32_e32 v12, v12
	v_cvt_u32_f32_e32 v3, v3
	v_readfirstlane_b32 s58, v12
	v_readfirstlane_b32 s0, v3
	s_mul_i32 s1, s2, s58
	s_mul_hi_u32 s60, s2, s0
	s_mul_i32 s59, s3, s0
	s_add_i32 s1, s60, s1
	s_add_i32 s1, s1, s59
	s_mul_i32 s61, s2, s0
	s_mul_i32 s60, s0, s1
	s_mul_hi_u32 s62, s0, s61
	s_mul_hi_u32 s59, s0, s1
	s_add_u32 s60, s62, s60
	s_addc_u32 s59, 0, s59
	s_mul_hi_u32 s63, s58, s61
	s_mul_i32 s61, s58, s61
	s_add_u32 s60, s60, s61
	s_mul_hi_u32 s62, s58, s1
	s_addc_u32 s59, s59, s63
	s_addc_u32 s60, s62, 0
	s_mul_i32 s1, s58, s1
	s_add_u32 s1, s59, s1
	s_addc_u32 s59, 0, s60
	s_add_u32 s60, s0, s1
	s_cselect_b64 s[0:1], -1, 0
	s_cmp_lg_u64 s[0:1], 0
	s_addc_u32 s58, s58, s59
	s_mul_i32 s0, s2, s58
	s_mul_hi_u32 s1, s2, s60
	s_add_i32 s0, s1, s0
	s_mul_i32 s3, s3, s60
	s_add_i32 s0, s0, s3
	s_mul_i32 s2, s2, s60
	s_mul_hi_u32 s3, s58, s2
	s_mul_i32 s59, s58, s2
	s_mul_i32 s62, s60, s0
	s_mul_hi_u32 s2, s60, s2
	s_mul_hi_u32 s61, s60, s0
	s_add_u32 s2, s2, s62
	s_addc_u32 s61, 0, s61
	s_add_u32 s2, s2, s59
	s_mul_hi_u32 s1, s58, s0
	s_addc_u32 s2, s61, s3
	s_addc_u32 s1, s1, 0
	s_mul_i32 s0, s58, s0
	s_add_u32 s0, s2, s0
	s_addc_u32 s2, 0, s1
	s_add_u32 s3, s60, s0
	s_cselect_b64 s[0:1], -1, 0
	v_ashrrev_i32_e32 v3, 31, v11
	s_cmp_lg_u64 s[0:1], 0
	v_add_co_u32_e32 v12, vcc, v10, v3
	s_addc_u32 s2, s58, s2
	v_xor_b32_e32 v17, v12, v3
	v_mad_u64_u32 v[12:13], s[0:1], v17, s2, 0
	v_mul_hi_u32 v15, v17, s3
	v_addc_co_u32_e32 v14, vcc, v11, v3, vcc
	v_xor_b32_e32 v18, v14, v3
	v_add_co_u32_e32 v19, vcc, v15, v12
	v_addc_co_u32_e32 v20, vcc, 0, v13, vcc
	v_mad_u64_u32 v[12:13], s[0:1], v18, s3, 0
	v_mad_u64_u32 v[14:15], s[0:1], v18, s2, 0
	v_add_co_u32_e32 v12, vcc, v19, v12
	v_addc_co_u32_e32 v12, vcc, v20, v13, vcc
	v_addc_co_u32_e32 v13, vcc, 0, v15, vcc
	v_add_co_u32_e32 v12, vcc, v12, v14
	v_addc_co_u32_e32 v13, vcc, 0, v13, vcc
	v_mul_lo_u32 v14, s57, v12
	v_mul_lo_u32 v15, s56, v13
	v_mad_u64_u32 v[12:13], s[0:1], s56, v12, 0
	v_add3_u32 v13, v13, v15, v14
	v_sub_u32_e32 v14, v18, v13
	v_mov_b32_e32 v15, s57
	v_sub_co_u32_e32 v12, vcc, v17, v12
	v_subb_co_u32_e64 v14, s[0:1], v14, v15, vcc
	v_subrev_co_u32_e64 v17, s[0:1], s56, v12
	v_subbrev_co_u32_e64 v19, s[2:3], 0, v14, s[0:1]
	v_cmp_le_u32_e64 s[2:3], s57, v19
	v_cndmask_b32_e64 v20, 0, -1, s[2:3]
	v_cmp_le_u32_e64 s[2:3], s56, v17
	v_subb_co_u32_e64 v14, s[0:1], v14, v15, s[0:1]
	v_cndmask_b32_e64 v21, 0, -1, s[2:3]
	v_cmp_eq_u32_e64 s[2:3], s57, v19
	v_subrev_co_u32_e64 v15, s[0:1], s56, v17
	v_subb_co_u32_e32 v13, vcc, v18, v13, vcc
	v_cndmask_b32_e64 v20, v20, v21, s[2:3]
	v_subbrev_co_u32_e64 v14, s[0:1], 0, v14, s[0:1]
	v_cmp_le_u32_e32 vcc, s57, v13
	v_cmp_ne_u32_e64 s[0:1], 0, v20
	v_cndmask_b32_e64 v18, 0, -1, vcc
	v_cmp_le_u32_e32 vcc, s56, v12
	v_cndmask_b32_e64 v14, v19, v14, s[0:1]
	v_cndmask_b32_e64 v19, 0, -1, vcc
	v_cmp_eq_u32_e32 vcc, s57, v13
	v_cndmask_b32_e32 v18, v18, v19, vcc
	v_cmp_ne_u32_e32 vcc, 0, v18
	v_cndmask_b32_e32 v13, v13, v14, vcc
	v_cndmask_b32_e64 v14, v17, v15, s[0:1]
	v_cndmask_b32_e32 v12, v12, v14, vcc
	v_xor_b32_e32 v12, v12, v3
	v_xor_b32_e32 v13, v13, v3
	v_sub_co_u32_e32 v12, vcc, v12, v3
	v_subb_co_u32_e32 v13, vcc, v13, v3, vcc
.LBB0_14:                               ;   in Loop: Header=BB0_4 Depth=1
	s_andn2_saveexec_b64 s[0:1], s[4:5]
	s_cbranch_execz .LBB0_16
; %bb.15:                               ;   in Loop: Header=BB0_4 Depth=1
	v_cvt_f32_u32_e32 v3, s16
	s_sub_i32 s2, 0, s16
	v_mov_b32_e32 v13, v2
	v_rcp_iflag_f32_e32 v3, v3
	v_mul_f32_e32 v3, 0x4f7ffffe, v3
	v_cvt_u32_f32_e32 v3, v3
	v_mul_lo_u32 v12, s2, v3
	v_mul_hi_u32 v12, v3, v12
	v_add_u32_e32 v3, v3, v12
	v_mul_hi_u32 v3, v10, v3
	v_mul_lo_u32 v3, v3, s16
	v_sub_u32_e32 v3, v10, v3
	v_subrev_u32_e32 v12, s16, v3
	v_cmp_le_u32_e32 vcc, s16, v3
	v_cndmask_b32_e32 v3, v3, v12, vcc
	v_subrev_u32_e32 v12, s16, v3
	v_cmp_le_u32_e32 vcc, s16, v3
	v_cndmask_b32_e32 v12, v3, v12, vcc
.LBB0_16:                               ;   in Loop: Header=BB0_4 Depth=1
	s_or_b64 exec, exec, s[0:1]
	v_or_b32_e32 v3, s33, v7
	v_cmp_ne_u64_e32 vcc, 0, v[2:3]
                                        ; implicit-def: $vgpr14_vgpr15
	s_and_saveexec_b64 s[0:1], vcc
	s_xor_b64 s[2:3], exec, s[0:1]
	s_cbranch_execz .LBB0_18
; %bb.17:                               ;   in Loop: Header=BB0_4 Depth=1
	s_ashr_i32 s4, s33, 31
	s_add_u32 s0, s72, s4
	s_mov_b32 s5, s4
	s_addc_u32 s1, s33, s4
	s_xor_b64 s[56:57], s[0:1], s[4:5]
	v_cvt_f32_u32_e32 v3, s56
	v_cvt_f32_u32_e32 v14, s57
	s_sub_u32 s5, 0, s56
	s_subb_u32 s58, 0, s57
	v_mac_f32_e32 v3, 0x4f800000, v14
	v_rcp_f32_e32 v3, v3
	v_mul_f32_e32 v3, 0x5f7ffffc, v3
	v_mul_f32_e32 v14, 0x2f800000, v3
	v_trunc_f32_e32 v14, v14
	v_mac_f32_e32 v3, 0xcf800000, v14
	v_cvt_u32_f32_e32 v14, v14
	v_cvt_u32_f32_e32 v3, v3
	v_readfirstlane_b32 s59, v14
	v_readfirstlane_b32 s0, v3
	s_mul_i32 s1, s5, s59
	s_mul_hi_u32 s61, s5, s0
	s_mul_i32 s60, s58, s0
	s_add_i32 s1, s61, s1
	s_add_i32 s1, s1, s60
	s_mul_i32 s62, s5, s0
	s_mul_i32 s61, s0, s1
	s_mul_hi_u32 s63, s0, s62
	s_mul_hi_u32 s60, s0, s1
	s_add_u32 s61, s63, s61
	s_addc_u32 s60, 0, s60
	s_mul_hi_u32 s64, s59, s62
	s_mul_i32 s62, s59, s62
	s_add_u32 s61, s61, s62
	s_mul_hi_u32 s63, s59, s1
	s_addc_u32 s60, s60, s64
	s_addc_u32 s61, s63, 0
	s_mul_i32 s1, s59, s1
	s_add_u32 s1, s60, s1
	s_addc_u32 s60, 0, s61
	s_add_u32 s61, s0, s1
	s_cselect_b64 s[0:1], -1, 0
	s_cmp_lg_u64 s[0:1], 0
	s_addc_u32 s59, s59, s60
	s_mul_i32 s0, s5, s59
	s_mul_hi_u32 s1, s5, s61
	s_add_i32 s0, s1, s0
	s_mul_i32 s58, s58, s61
	s_add_i32 s0, s0, s58
	s_mul_i32 s5, s5, s61
	s_mul_hi_u32 s58, s59, s5
	s_mul_i32 s60, s59, s5
	s_mul_i32 s63, s61, s0
	s_mul_hi_u32 s5, s61, s5
	s_mul_hi_u32 s62, s61, s0
	s_add_u32 s5, s5, s63
	s_addc_u32 s62, 0, s62
	s_add_u32 s5, s5, s60
	s_mul_hi_u32 s1, s59, s0
	s_addc_u32 s5, s62, s58
	s_addc_u32 s1, s1, 0
	s_mul_i32 s0, s59, s0
	s_add_u32 s0, s5, s0
	s_addc_u32 s5, 0, s1
	s_add_u32 s58, s61, s0
	s_cselect_b64 s[0:1], -1, 0
	s_cmp_lg_u64 s[0:1], 0
	v_add_co_u32_e32 v3, vcc, v6, v16
	s_addc_u32 s5, s59, s5
	v_xor_b32_e32 v3, v3, v16
	v_mad_u64_u32 v[14:15], s[0:1], v3, s5, 0
	v_mul_hi_u32 v18, v3, s58
	v_addc_co_u32_e32 v17, vcc, v7, v16, vcc
	v_xor_b32_e32 v19, v17, v16
	v_add_co_u32_e32 v20, vcc, v18, v14
	v_addc_co_u32_e32 v21, vcc, 0, v15, vcc
	v_mad_u64_u32 v[14:15], s[0:1], v19, s58, 0
	v_mad_u64_u32 v[17:18], s[0:1], v19, s5, 0
	v_add_co_u32_e32 v14, vcc, v20, v14
	v_addc_co_u32_e32 v14, vcc, v21, v15, vcc
	v_addc_co_u32_e32 v15, vcc, 0, v18, vcc
	v_add_co_u32_e32 v17, vcc, v14, v17
	v_addc_co_u32_e32 v18, vcc, 0, v15, vcc
	v_mul_lo_u32 v20, s57, v17
	v_mul_lo_u32 v21, s56, v18
	v_mad_u64_u32 v[14:15], s[0:1], s56, v17, 0
	v_add3_u32 v15, v15, v21, v20
	v_sub_u32_e32 v20, v19, v15
	v_mov_b32_e32 v21, s57
	v_sub_co_u32_e32 v3, vcc, v3, v14
	v_subb_co_u32_e64 v14, s[0:1], v20, v21, vcc
	v_subrev_co_u32_e64 v20, s[0:1], s56, v3
	v_subbrev_co_u32_e64 v14, s[0:1], 0, v14, s[0:1]
	v_cmp_le_u32_e64 s[0:1], s57, v14
	v_cndmask_b32_e64 v21, 0, -1, s[0:1]
	v_cmp_le_u32_e64 s[0:1], s56, v20
	v_cndmask_b32_e64 v20, 0, -1, s[0:1]
	v_cmp_eq_u32_e64 s[0:1], s57, v14
	v_cndmask_b32_e64 v14, v21, v20, s[0:1]
	v_add_co_u32_e64 v20, s[0:1], 2, v17
	v_subb_co_u32_e32 v15, vcc, v19, v15, vcc
	v_addc_co_u32_e64 v21, s[0:1], 0, v18, s[0:1]
	v_cmp_le_u32_e32 vcc, s57, v15
	v_add_co_u32_e64 v22, s[0:1], 1, v17
	v_cndmask_b32_e64 v19, 0, -1, vcc
	v_cmp_le_u32_e32 vcc, s56, v3
	v_addc_co_u32_e64 v23, s[0:1], 0, v18, s[0:1]
	v_cndmask_b32_e64 v3, 0, -1, vcc
	v_cmp_eq_u32_e32 vcc, s57, v15
	v_cmp_ne_u32_e64 s[0:1], 0, v14
	v_cndmask_b32_e32 v3, v19, v3, vcc
	v_cndmask_b32_e64 v14, v23, v21, s[0:1]
	v_cmp_ne_u32_e32 vcc, 0, v3
	v_cndmask_b32_e32 v3, v18, v14, vcc
	v_cndmask_b32_e64 v14, v22, v20, s[0:1]
	v_cndmask_b32_e32 v14, v17, v14, vcc
	v_xor_b32_e32 v15, s4, v16
	v_xor_b32_e32 v14, v14, v15
	;; [unrolled: 1-line block ×3, first 2 shown]
	v_sub_co_u32_e32 v14, vcc, v14, v15
	v_subb_co_u32_e32 v15, vcc, v3, v15, vcc
.LBB0_18:                               ;   in Loop: Header=BB0_4 Depth=1
	s_andn2_saveexec_b64 s[0:1], s[2:3]
	s_cbranch_execz .LBB0_20
; %bb.19:                               ;   in Loop: Header=BB0_4 Depth=1
	v_cvt_f32_u32_e32 v3, s72
	s_sub_i32 s2, 0, s72
	v_rcp_iflag_f32_e32 v3, v3
	v_mul_f32_e32 v3, 0x4f7ffffe, v3
	v_cvt_u32_f32_e32 v3, v3
	v_mul_lo_u32 v14, s2, v3
	v_mul_hi_u32 v14, v3, v14
	v_add_u32_e32 v3, v3, v14
	v_mul_hi_u32 v3, v6, v3
	v_mul_lo_u32 v14, v3, s72
	v_add_u32_e32 v15, 1, v3
	v_sub_u32_e32 v14, v6, v14
	v_subrev_u32_e32 v16, s72, v14
	v_cmp_le_u32_e32 vcc, s72, v14
	v_cndmask_b32_e32 v14, v14, v16, vcc
	v_cndmask_b32_e32 v3, v3, v15, vcc
	v_add_u32_e32 v15, 1, v3
	v_cmp_le_u32_e32 vcc, s72, v14
	v_cndmask_b32_e32 v14, v3, v15, vcc
	v_mov_b32_e32 v15, v2
.LBB0_20:                               ;   in Loop: Header=BB0_4 Depth=1
	s_or_b64 exec, exec, s[0:1]
	v_mul_lo_u32 v3, v11, s18
	v_mul_lo_u32 v11, v10, s19
	v_mad_u64_u32 v[16:17], s[0:1], v10, s18, 0
	v_add3_u32 v17, v17, v11, v3
	v_sub_co_u32_e32 v3, vcc, v6, v16
	v_subb_co_u32_e32 v10, vcc, v7, v17, vcc
	v_mov_b32_e32 v11, s39
	v_add_co_u32_e32 v18, vcc, s38, v3
	v_addc_co_u32_e32 v19, vcc, v10, v11, vcc
	v_cmp_lt_i64_e32 vcc, s[14:15], v[18:19]
	v_mov_b32_e32 v10, 0
	v_mov_b32_e32 v11, 0
	s_and_saveexec_b64 s[2:3], vcc
	s_cbranch_execz .LBB0_26
; %bb.21:                               ;   in Loop: Header=BB0_4 Depth=1
	v_mov_b32_e32 v3, s35
	v_add_co_u32_e32 v20, vcc, s34, v18
	v_addc_co_u32_e32 v21, vcc, v19, v3, vcc
	v_or_b32_e32 v3, s43, v21
	v_cmp_ne_u64_e32 vcc, 0, v[2:3]
                                        ; implicit-def: $vgpr10_vgpr11
	s_and_saveexec_b64 s[0:1], vcc
	s_xor_b64 s[4:5], exec, s[0:1]
	s_cbranch_execz .LBB0_23
; %bb.22:                               ;   in Loop: Header=BB0_4 Depth=1
	s_ashr_i32 s56, s43, 31
	s_add_u32 s0, s42, s56
	s_mov_b32 s57, s56
	s_addc_u32 s1, s43, s56
	s_xor_b64 s[58:59], s[0:1], s[56:57]
	v_cvt_f32_u32_e32 v3, s58
	v_cvt_f32_u32_e32 v10, s59
	s_sub_u32 s57, 0, s58
	s_subb_u32 s60, 0, s59
	v_mac_f32_e32 v3, 0x4f800000, v10
	v_rcp_f32_e32 v3, v3
	v_mul_f32_e32 v3, 0x5f7ffffc, v3
	v_mul_f32_e32 v10, 0x2f800000, v3
	v_trunc_f32_e32 v10, v10
	v_mac_f32_e32 v3, 0xcf800000, v10
	v_cvt_u32_f32_e32 v10, v10
	v_cvt_u32_f32_e32 v3, v3
	v_readfirstlane_b32 s61, v10
	v_readfirstlane_b32 s0, v3
	s_mul_i32 s1, s57, s61
	s_mul_hi_u32 s63, s57, s0
	s_mul_i32 s62, s60, s0
	s_add_i32 s1, s63, s1
	s_add_i32 s1, s1, s62
	s_mul_i32 s64, s57, s0
	s_mul_i32 s63, s0, s1
	s_mul_hi_u32 s65, s0, s64
	s_mul_hi_u32 s62, s0, s1
	s_add_u32 s63, s65, s63
	s_addc_u32 s62, 0, s62
	s_mul_hi_u32 s66, s61, s64
	s_mul_i32 s64, s61, s64
	s_add_u32 s63, s63, s64
	s_mul_hi_u32 s65, s61, s1
	s_addc_u32 s62, s62, s66
	s_addc_u32 s63, s65, 0
	s_mul_i32 s1, s61, s1
	s_add_u32 s1, s62, s1
	s_addc_u32 s62, 0, s63
	s_add_u32 s63, s0, s1
	s_cselect_b64 s[0:1], -1, 0
	s_cmp_lg_u64 s[0:1], 0
	s_addc_u32 s61, s61, s62
	s_mul_i32 s0, s57, s61
	s_mul_hi_u32 s1, s57, s63
	s_add_i32 s0, s1, s0
	s_mul_i32 s60, s60, s63
	s_add_i32 s0, s0, s60
	s_mul_i32 s57, s57, s63
	s_mul_hi_u32 s60, s61, s57
	s_mul_i32 s62, s61, s57
	s_mul_i32 s65, s63, s0
	s_mul_hi_u32 s57, s63, s57
	s_mul_hi_u32 s64, s63, s0
	s_add_u32 s57, s57, s65
	s_addc_u32 s64, 0, s64
	s_add_u32 s57, s57, s62
	s_mul_hi_u32 s1, s61, s0
	s_addc_u32 s57, s64, s60
	s_addc_u32 s1, s1, 0
	s_mul_i32 s0, s61, s0
	s_add_u32 s0, s57, s0
	s_addc_u32 s57, 0, s1
	s_add_u32 s60, s63, s0
	s_cselect_b64 s[0:1], -1, 0
	v_ashrrev_i32_e32 v3, 31, v21
	s_cmp_lg_u64 s[0:1], 0
	v_add_co_u32_e32 v10, vcc, v20, v3
	s_addc_u32 s57, s61, s57
	v_xor_b32_e32 v22, v10, v3
	v_addc_co_u32_e32 v20, vcc, v21, v3, vcc
	v_mad_u64_u32 v[10:11], s[0:1], v22, s57, 0
	v_mul_hi_u32 v21, v22, s60
	v_xor_b32_e32 v23, v20, v3
	v_xor_b32_e32 v3, s56, v3
	v_add_co_u32_e32 v24, vcc, v21, v10
	v_addc_co_u32_e32 v25, vcc, 0, v11, vcc
	v_mad_u64_u32 v[10:11], s[0:1], v23, s60, 0
	v_mad_u64_u32 v[20:21], s[0:1], v23, s57, 0
	v_add_co_u32_e32 v10, vcc, v24, v10
	v_addc_co_u32_e32 v10, vcc, v25, v11, vcc
	v_addc_co_u32_e32 v11, vcc, 0, v21, vcc
	v_add_co_u32_e32 v20, vcc, v10, v20
	v_addc_co_u32_e32 v21, vcc, 0, v11, vcc
	v_mul_lo_u32 v24, s59, v20
	v_mul_lo_u32 v25, s58, v21
	v_mad_u64_u32 v[10:11], s[0:1], s58, v20, 0
	v_add3_u32 v11, v11, v25, v24
	v_sub_u32_e32 v24, v23, v11
	v_mov_b32_e32 v25, s59
	v_sub_co_u32_e32 v10, vcc, v22, v10
	v_subb_co_u32_e64 v22, s[0:1], v24, v25, vcc
	v_subrev_co_u32_e64 v24, s[0:1], s58, v10
	v_subbrev_co_u32_e64 v22, s[0:1], 0, v22, s[0:1]
	v_cmp_le_u32_e64 s[0:1], s59, v22
	v_cndmask_b32_e64 v25, 0, -1, s[0:1]
	v_cmp_le_u32_e64 s[0:1], s58, v24
	v_cndmask_b32_e64 v24, 0, -1, s[0:1]
	v_cmp_eq_u32_e64 s[0:1], s59, v22
	v_cndmask_b32_e64 v22, v25, v24, s[0:1]
	v_add_co_u32_e64 v24, s[0:1], 2, v20
	v_subb_co_u32_e32 v11, vcc, v23, v11, vcc
	v_addc_co_u32_e64 v25, s[0:1], 0, v21, s[0:1]
	v_cmp_le_u32_e32 vcc, s59, v11
	v_add_co_u32_e64 v26, s[0:1], 1, v20
	v_cndmask_b32_e64 v23, 0, -1, vcc
	v_cmp_le_u32_e32 vcc, s58, v10
	v_addc_co_u32_e64 v27, s[0:1], 0, v21, s[0:1]
	v_cndmask_b32_e64 v10, 0, -1, vcc
	v_cmp_eq_u32_e32 vcc, s59, v11
	v_cmp_ne_u32_e64 s[0:1], 0, v22
	v_cndmask_b32_e32 v10, v23, v10, vcc
	v_cndmask_b32_e64 v22, v27, v25, s[0:1]
	v_cmp_ne_u32_e32 vcc, 0, v10
	v_cndmask_b32_e64 v11, v26, v24, s[0:1]
	v_cndmask_b32_e32 v10, v21, v22, vcc
	v_cndmask_b32_e32 v11, v20, v11, vcc
	v_xor_b32_e32 v20, v10, v3
	v_xor_b32_e32 v10, v11, v3
	v_sub_co_u32_e32 v10, vcc, v10, v3
	v_subb_co_u32_e32 v11, vcc, v20, v3, vcc
                                        ; implicit-def: $vgpr20
.LBB0_23:                               ;   in Loop: Header=BB0_4 Depth=1
	s_andn2_saveexec_b64 s[0:1], s[4:5]
	s_cbranch_execz .LBB0_25
; %bb.24:                               ;   in Loop: Header=BB0_4 Depth=1
	v_cvt_f32_u32_e32 v3, s42
	s_sub_i32 s4, 0, s42
	v_rcp_iflag_f32_e32 v3, v3
	v_mul_f32_e32 v3, 0x4f7ffffe, v3
	v_cvt_u32_f32_e32 v3, v3
	v_mul_lo_u32 v10, s4, v3
	v_mul_hi_u32 v10, v3, v10
	v_add_u32_e32 v3, v3, v10
	v_mul_hi_u32 v3, v20, v3
	v_mul_lo_u32 v10, v3, s42
	v_add_u32_e32 v11, 1, v3
	v_sub_u32_e32 v10, v20, v10
	v_subrev_u32_e32 v20, s42, v10
	v_cmp_le_u32_e32 vcc, s42, v10
	v_cndmask_b32_e32 v10, v10, v20, vcc
	v_cndmask_b32_e32 v3, v3, v11, vcc
	v_add_u32_e32 v11, 1, v3
	v_cmp_le_u32_e32 vcc, s42, v10
	v_cndmask_b32_e32 v10, v3, v11, vcc
	v_mov_b32_e32 v11, v2
.LBB0_25:                               ;   in Loop: Header=BB0_4 Depth=1
	s_or_b64 exec, exec, s[0:1]
	v_add_co_u32_e32 v10, vcc, 1, v10
	v_addc_co_u32_e32 v11, vcc, 0, v11, vcc
.LBB0_26:                               ;   in Loop: Header=BB0_4 Depth=1
	s_or_b64 exec, exec, s[2:3]
	v_or_b32_e32 v3, s43, v19
	v_cmp_ne_u64_e32 vcc, 0, v[2:3]
                                        ; implicit-def: $vgpr22_vgpr23
	s_and_saveexec_b64 s[0:1], vcc
	s_xor_b64 s[2:3], exec, s[0:1]
	s_cbranch_execz .LBB0_28
; %bb.27:                               ;   in Loop: Header=BB0_4 Depth=1
	s_ashr_i32 s4, s43, 31
	s_add_u32 s0, s42, s4
	s_mov_b32 s5, s4
	s_addc_u32 s1, s43, s4
	s_xor_b64 s[56:57], s[0:1], s[4:5]
	v_cvt_f32_u32_e32 v3, s56
	v_cvt_f32_u32_e32 v20, s57
	s_sub_u32 s5, 0, s56
	s_subb_u32 s58, 0, s57
	v_mac_f32_e32 v3, 0x4f800000, v20
	v_rcp_f32_e32 v3, v3
	v_mul_f32_e32 v3, 0x5f7ffffc, v3
	v_mul_f32_e32 v20, 0x2f800000, v3
	v_trunc_f32_e32 v20, v20
	v_mac_f32_e32 v3, 0xcf800000, v20
	v_cvt_u32_f32_e32 v20, v20
	v_cvt_u32_f32_e32 v3, v3
	v_readfirstlane_b32 s59, v20
	v_readfirstlane_b32 s0, v3
	s_mul_i32 s1, s5, s59
	s_mul_hi_u32 s61, s5, s0
	s_mul_i32 s60, s58, s0
	s_add_i32 s1, s61, s1
	s_add_i32 s1, s1, s60
	s_mul_i32 s62, s5, s0
	s_mul_i32 s61, s0, s1
	s_mul_hi_u32 s63, s0, s62
	s_mul_hi_u32 s60, s0, s1
	s_add_u32 s61, s63, s61
	s_addc_u32 s60, 0, s60
	s_mul_hi_u32 s64, s59, s62
	s_mul_i32 s62, s59, s62
	s_add_u32 s61, s61, s62
	s_mul_hi_u32 s63, s59, s1
	s_addc_u32 s60, s60, s64
	s_addc_u32 s61, s63, 0
	s_mul_i32 s1, s59, s1
	s_add_u32 s1, s60, s1
	s_addc_u32 s60, 0, s61
	s_add_u32 s61, s0, s1
	s_cselect_b64 s[0:1], -1, 0
	s_cmp_lg_u64 s[0:1], 0
	s_addc_u32 s59, s59, s60
	s_mul_i32 s0, s5, s59
	s_mul_hi_u32 s1, s5, s61
	s_add_i32 s0, s1, s0
	s_mul_i32 s58, s58, s61
	s_add_i32 s0, s0, s58
	s_mul_i32 s5, s5, s61
	s_mul_hi_u32 s58, s59, s5
	s_mul_i32 s60, s59, s5
	s_mul_i32 s63, s61, s0
	s_mul_hi_u32 s5, s61, s5
	s_mul_hi_u32 s62, s61, s0
	s_add_u32 s5, s5, s63
	s_addc_u32 s62, 0, s62
	s_add_u32 s5, s5, s60
	s_mul_hi_u32 s1, s59, s0
	s_addc_u32 s5, s62, s58
	s_addc_u32 s1, s1, 0
	s_mul_i32 s0, s59, s0
	s_add_u32 s0, s5, s0
	s_addc_u32 s5, 0, s1
	s_add_u32 s58, s61, s0
	s_cselect_b64 s[0:1], -1, 0
	v_ashrrev_i32_e32 v3, 31, v19
	s_cmp_lg_u64 s[0:1], 0
	v_add_co_u32_e32 v18, vcc, v18, v3
	s_addc_u32 s5, s59, s5
	v_xor_b32_e32 v22, v18, v3
	v_addc_co_u32_e32 v20, vcc, v19, v3, vcc
	v_mad_u64_u32 v[18:19], s[0:1], v22, s5, 0
	v_mul_hi_u32 v21, v22, s58
	v_xor_b32_e32 v23, v20, v3
	v_xor_b32_e32 v3, s4, v3
	v_add_co_u32_e32 v24, vcc, v21, v18
	v_addc_co_u32_e32 v25, vcc, 0, v19, vcc
	v_mad_u64_u32 v[18:19], s[0:1], v23, s58, 0
	v_mad_u64_u32 v[20:21], s[0:1], v23, s5, 0
	v_add_co_u32_e32 v18, vcc, v24, v18
	v_addc_co_u32_e32 v18, vcc, v25, v19, vcc
	v_addc_co_u32_e32 v19, vcc, 0, v21, vcc
	v_add_co_u32_e32 v20, vcc, v18, v20
	v_addc_co_u32_e32 v21, vcc, 0, v19, vcc
	v_mul_lo_u32 v24, s57, v20
	v_mul_lo_u32 v25, s56, v21
	v_mad_u64_u32 v[18:19], s[0:1], s56, v20, 0
	v_add3_u32 v19, v19, v25, v24
	v_sub_u32_e32 v24, v23, v19
	v_mov_b32_e32 v25, s57
	v_sub_co_u32_e32 v18, vcc, v22, v18
	v_subb_co_u32_e64 v22, s[0:1], v24, v25, vcc
	v_subrev_co_u32_e64 v24, s[0:1], s56, v18
	v_subbrev_co_u32_e64 v22, s[0:1], 0, v22, s[0:1]
	v_cmp_le_u32_e64 s[0:1], s57, v22
	v_cndmask_b32_e64 v25, 0, -1, s[0:1]
	v_cmp_le_u32_e64 s[0:1], s56, v24
	v_cndmask_b32_e64 v24, 0, -1, s[0:1]
	v_cmp_eq_u32_e64 s[0:1], s57, v22
	v_cndmask_b32_e64 v22, v25, v24, s[0:1]
	v_add_co_u32_e64 v24, s[0:1], 2, v20
	v_subb_co_u32_e32 v19, vcc, v23, v19, vcc
	v_addc_co_u32_e64 v25, s[0:1], 0, v21, s[0:1]
	v_cmp_le_u32_e32 vcc, s57, v19
	v_add_co_u32_e64 v26, s[0:1], 1, v20
	v_cndmask_b32_e64 v23, 0, -1, vcc
	v_cmp_le_u32_e32 vcc, s56, v18
	v_addc_co_u32_e64 v27, s[0:1], 0, v21, s[0:1]
	v_cndmask_b32_e64 v18, 0, -1, vcc
	v_cmp_eq_u32_e32 vcc, s57, v19
	v_cmp_ne_u32_e64 s[0:1], 0, v22
	v_cndmask_b32_e32 v18, v23, v18, vcc
	v_cmp_ne_u32_e32 vcc, 0, v18
	v_cndmask_b32_e64 v19, v26, v24, s[0:1]
	v_cndmask_b32_e64 v22, v27, v25, s[0:1]
	v_cndmask_b32_e32 v19, v20, v19, vcc
	v_cndmask_b32_e32 v18, v21, v22, vcc
	v_xor_b32_e32 v19, v19, v3
	v_xor_b32_e32 v18, v18, v3
	v_sub_co_u32_e32 v22, vcc, v19, v3
	v_subb_co_u32_e32 v23, vcc, v18, v3, vcc
                                        ; implicit-def: $vgpr18
.LBB0_28:                               ;   in Loop: Header=BB0_4 Depth=1
	s_andn2_saveexec_b64 s[0:1], s[2:3]
	s_cbranch_execz .LBB0_30
; %bb.29:                               ;   in Loop: Header=BB0_4 Depth=1
	v_cvt_f32_u32_e32 v3, s42
	s_sub_i32 s2, 0, s42
	v_mov_b32_e32 v23, v2
	v_rcp_iflag_f32_e32 v3, v3
	v_mul_f32_e32 v3, 0x4f7ffffe, v3
	v_cvt_u32_f32_e32 v3, v3
	v_mul_lo_u32 v19, s2, v3
	v_mul_hi_u32 v19, v3, v19
	v_add_u32_e32 v3, v3, v19
	v_mul_hi_u32 v3, v18, v3
	v_mul_lo_u32 v19, v3, s42
	v_add_u32_e32 v20, 1, v3
	v_sub_u32_e32 v18, v18, v19
	v_subrev_u32_e32 v19, s42, v18
	v_cmp_le_u32_e32 vcc, s42, v18
	v_cndmask_b32_e32 v18, v18, v19, vcc
	v_cndmask_b32_e32 v3, v3, v20, vcc
	v_add_u32_e32 v19, 1, v3
	v_cmp_le_u32_e32 vcc, s42, v18
	v_cndmask_b32_e32 v22, v3, v19, vcc
.LBB0_30:                               ;   in Loop: Header=BB0_4 Depth=1
	s_or_b64 exec, exec, s[0:1]
	v_mov_b32_e32 v3, s37
	v_add_co_u32_e32 v12, vcc, s36, v12
	v_addc_co_u32_e32 v13, vcc, v13, v3, vcc
	v_cmp_lt_i64_e32 vcc, s[28:29], v[12:13]
	v_mov_b32_e32 v18, 0
	v_mov_b32_e32 v19, 0
	s_and_saveexec_b64 s[2:3], vcc
	s_cbranch_execz .LBB0_36
; %bb.31:                               ;   in Loop: Header=BB0_4 Depth=1
	v_mov_b32_e32 v3, s31
	v_add_co_u32_e32 v20, vcc, s30, v12
	v_addc_co_u32_e32 v21, vcc, v13, v3, vcc
	v_or_b32_e32 v3, s41, v21
	v_cmp_ne_u64_e32 vcc, 0, v[2:3]
                                        ; implicit-def: $vgpr18_vgpr19
	s_and_saveexec_b64 s[0:1], vcc
	s_xor_b64 s[4:5], exec, s[0:1]
	s_cbranch_execz .LBB0_33
; %bb.32:                               ;   in Loop: Header=BB0_4 Depth=1
	s_ashr_i32 s56, s41, 31
	s_add_u32 s0, s40, s56
	s_mov_b32 s57, s56
	s_addc_u32 s1, s41, s56
	s_xor_b64 s[58:59], s[0:1], s[56:57]
	v_cvt_f32_u32_e32 v3, s58
	v_cvt_f32_u32_e32 v18, s59
	s_sub_u32 s57, 0, s58
	s_subb_u32 s60, 0, s59
	v_mac_f32_e32 v3, 0x4f800000, v18
	v_rcp_f32_e32 v3, v3
	v_mul_f32_e32 v3, 0x5f7ffffc, v3
	v_mul_f32_e32 v18, 0x2f800000, v3
	v_trunc_f32_e32 v18, v18
	v_mac_f32_e32 v3, 0xcf800000, v18
	v_cvt_u32_f32_e32 v18, v18
	v_cvt_u32_f32_e32 v3, v3
	v_readfirstlane_b32 s61, v18
	v_readfirstlane_b32 s0, v3
	s_mul_i32 s1, s57, s61
	s_mul_hi_u32 s63, s57, s0
	s_mul_i32 s62, s60, s0
	s_add_i32 s1, s63, s1
	s_add_i32 s1, s1, s62
	s_mul_i32 s64, s57, s0
	s_mul_i32 s63, s0, s1
	s_mul_hi_u32 s65, s0, s64
	s_mul_hi_u32 s62, s0, s1
	s_add_u32 s63, s65, s63
	s_addc_u32 s62, 0, s62
	s_mul_hi_u32 s66, s61, s64
	s_mul_i32 s64, s61, s64
	s_add_u32 s63, s63, s64
	s_mul_hi_u32 s65, s61, s1
	s_addc_u32 s62, s62, s66
	s_addc_u32 s63, s65, 0
	s_mul_i32 s1, s61, s1
	s_add_u32 s1, s62, s1
	s_addc_u32 s62, 0, s63
	s_add_u32 s63, s0, s1
	s_cselect_b64 s[0:1], -1, 0
	s_cmp_lg_u64 s[0:1], 0
	s_addc_u32 s61, s61, s62
	s_mul_i32 s0, s57, s61
	s_mul_hi_u32 s1, s57, s63
	s_add_i32 s0, s1, s0
	s_mul_i32 s60, s60, s63
	s_add_i32 s0, s0, s60
	s_mul_i32 s57, s57, s63
	s_mul_hi_u32 s60, s61, s57
	s_mul_i32 s62, s61, s57
	s_mul_i32 s65, s63, s0
	s_mul_hi_u32 s57, s63, s57
	s_mul_hi_u32 s64, s63, s0
	s_add_u32 s57, s57, s65
	s_addc_u32 s64, 0, s64
	s_add_u32 s57, s57, s62
	s_mul_hi_u32 s1, s61, s0
	s_addc_u32 s57, s64, s60
	s_addc_u32 s1, s1, 0
	s_mul_i32 s0, s61, s0
	s_add_u32 s0, s57, s0
	s_addc_u32 s57, 0, s1
	s_add_u32 s60, s63, s0
	s_cselect_b64 s[0:1], -1, 0
	v_ashrrev_i32_e32 v3, 31, v21
	s_cmp_lg_u64 s[0:1], 0
	v_add_co_u32_e32 v18, vcc, v20, v3
	s_addc_u32 s57, s61, s57
	v_xor_b32_e32 v24, v18, v3
	v_addc_co_u32_e32 v20, vcc, v21, v3, vcc
	v_mad_u64_u32 v[18:19], s[0:1], v24, s57, 0
	v_mul_hi_u32 v21, v24, s60
	v_xor_b32_e32 v25, v20, v3
	v_xor_b32_e32 v3, s56, v3
	v_add_co_u32_e32 v26, vcc, v21, v18
	v_addc_co_u32_e32 v27, vcc, 0, v19, vcc
	v_mad_u64_u32 v[18:19], s[0:1], v25, s60, 0
	v_mad_u64_u32 v[20:21], s[0:1], v25, s57, 0
	v_add_co_u32_e32 v18, vcc, v26, v18
	v_addc_co_u32_e32 v18, vcc, v27, v19, vcc
	v_addc_co_u32_e32 v19, vcc, 0, v21, vcc
	v_add_co_u32_e32 v20, vcc, v18, v20
	v_addc_co_u32_e32 v21, vcc, 0, v19, vcc
	v_mul_lo_u32 v26, s59, v20
	v_mul_lo_u32 v27, s58, v21
	v_mad_u64_u32 v[18:19], s[0:1], s58, v20, 0
	v_add3_u32 v19, v19, v27, v26
	v_sub_u32_e32 v26, v25, v19
	v_mov_b32_e32 v27, s59
	v_sub_co_u32_e32 v18, vcc, v24, v18
	v_subb_co_u32_e64 v24, s[0:1], v26, v27, vcc
	v_subrev_co_u32_e64 v26, s[0:1], s58, v18
	v_subbrev_co_u32_e64 v24, s[0:1], 0, v24, s[0:1]
	v_cmp_le_u32_e64 s[0:1], s59, v24
	v_cndmask_b32_e64 v27, 0, -1, s[0:1]
	v_cmp_le_u32_e64 s[0:1], s58, v26
	v_cndmask_b32_e64 v26, 0, -1, s[0:1]
	v_cmp_eq_u32_e64 s[0:1], s59, v24
	v_cndmask_b32_e64 v24, v27, v26, s[0:1]
	v_add_co_u32_e64 v26, s[0:1], 2, v20
	v_subb_co_u32_e32 v19, vcc, v25, v19, vcc
	v_addc_co_u32_e64 v27, s[0:1], 0, v21, s[0:1]
	v_cmp_le_u32_e32 vcc, s59, v19
	v_add_co_u32_e64 v28, s[0:1], 1, v20
	v_cndmask_b32_e64 v25, 0, -1, vcc
	v_cmp_le_u32_e32 vcc, s58, v18
	v_addc_co_u32_e64 v29, s[0:1], 0, v21, s[0:1]
	v_cndmask_b32_e64 v18, 0, -1, vcc
	v_cmp_eq_u32_e32 vcc, s59, v19
	v_cmp_ne_u32_e64 s[0:1], 0, v24
	v_cndmask_b32_e32 v18, v25, v18, vcc
	v_cndmask_b32_e64 v24, v29, v27, s[0:1]
	v_cmp_ne_u32_e32 vcc, 0, v18
	v_cndmask_b32_e64 v19, v28, v26, s[0:1]
	v_cndmask_b32_e32 v18, v21, v24, vcc
	v_cndmask_b32_e32 v19, v20, v19, vcc
	v_xor_b32_e32 v20, v18, v3
	v_xor_b32_e32 v18, v19, v3
	v_sub_co_u32_e32 v18, vcc, v18, v3
	v_subb_co_u32_e32 v19, vcc, v20, v3, vcc
                                        ; implicit-def: $vgpr20
.LBB0_33:                               ;   in Loop: Header=BB0_4 Depth=1
	s_andn2_saveexec_b64 s[0:1], s[4:5]
	s_cbranch_execz .LBB0_35
; %bb.34:                               ;   in Loop: Header=BB0_4 Depth=1
	v_cvt_f32_u32_e32 v3, s40
	s_sub_i32 s4, 0, s40
	v_rcp_iflag_f32_e32 v3, v3
	v_mul_f32_e32 v3, 0x4f7ffffe, v3
	v_cvt_u32_f32_e32 v3, v3
	v_mul_lo_u32 v18, s4, v3
	v_mul_hi_u32 v18, v3, v18
	v_add_u32_e32 v3, v3, v18
	v_mul_hi_u32 v3, v20, v3
	v_mul_lo_u32 v18, v3, s40
	v_add_u32_e32 v19, 1, v3
	v_sub_u32_e32 v18, v20, v18
	v_subrev_u32_e32 v20, s40, v18
	v_cmp_le_u32_e32 vcc, s40, v18
	v_cndmask_b32_e32 v18, v18, v20, vcc
	v_cndmask_b32_e32 v3, v3, v19, vcc
	v_add_u32_e32 v19, 1, v3
	v_cmp_le_u32_e32 vcc, s40, v18
	v_cndmask_b32_e32 v18, v3, v19, vcc
	v_mov_b32_e32 v19, v2
.LBB0_35:                               ;   in Loop: Header=BB0_4 Depth=1
	s_or_b64 exec, exec, s[0:1]
	v_add_co_u32_e32 v18, vcc, 1, v18
	v_addc_co_u32_e32 v19, vcc, 0, v19, vcc
.LBB0_36:                               ;   in Loop: Header=BB0_4 Depth=1
	s_or_b64 exec, exec, s[2:3]
	v_or_b32_e32 v3, s41, v13
	v_cmp_ne_u64_e32 vcc, 0, v[2:3]
                                        ; implicit-def: $vgpr20_vgpr21
	s_and_saveexec_b64 s[0:1], vcc
	s_xor_b64 s[2:3], exec, s[0:1]
	s_cbranch_execz .LBB0_38
; %bb.37:                               ;   in Loop: Header=BB0_4 Depth=1
	s_ashr_i32 s4, s41, 31
	s_add_u32 s0, s40, s4
	s_mov_b32 s5, s4
	s_addc_u32 s1, s41, s4
	s_xor_b64 s[56:57], s[0:1], s[4:5]
	v_cvt_f32_u32_e32 v3, s56
	v_cvt_f32_u32_e32 v20, s57
	s_sub_u32 s5, 0, s56
	s_subb_u32 s58, 0, s57
	v_mac_f32_e32 v3, 0x4f800000, v20
	v_rcp_f32_e32 v3, v3
	v_mul_f32_e32 v3, 0x5f7ffffc, v3
	v_mul_f32_e32 v20, 0x2f800000, v3
	v_trunc_f32_e32 v20, v20
	v_mac_f32_e32 v3, 0xcf800000, v20
	v_cvt_u32_f32_e32 v20, v20
	v_cvt_u32_f32_e32 v3, v3
	v_readfirstlane_b32 s59, v20
	v_readfirstlane_b32 s0, v3
	s_mul_i32 s1, s5, s59
	s_mul_hi_u32 s61, s5, s0
	s_mul_i32 s60, s58, s0
	s_add_i32 s1, s61, s1
	s_add_i32 s1, s1, s60
	s_mul_i32 s62, s5, s0
	s_mul_i32 s61, s0, s1
	s_mul_hi_u32 s63, s0, s62
	s_mul_hi_u32 s60, s0, s1
	s_add_u32 s61, s63, s61
	s_addc_u32 s60, 0, s60
	s_mul_hi_u32 s64, s59, s62
	s_mul_i32 s62, s59, s62
	s_add_u32 s61, s61, s62
	s_mul_hi_u32 s63, s59, s1
	s_addc_u32 s60, s60, s64
	s_addc_u32 s61, s63, 0
	s_mul_i32 s1, s59, s1
	s_add_u32 s1, s60, s1
	s_addc_u32 s60, 0, s61
	s_add_u32 s61, s0, s1
	s_cselect_b64 s[0:1], -1, 0
	s_cmp_lg_u64 s[0:1], 0
	s_addc_u32 s59, s59, s60
	s_mul_i32 s0, s5, s59
	s_mul_hi_u32 s1, s5, s61
	s_add_i32 s0, s1, s0
	s_mul_i32 s58, s58, s61
	s_add_i32 s0, s0, s58
	s_mul_i32 s5, s5, s61
	s_mul_hi_u32 s58, s59, s5
	s_mul_i32 s60, s59, s5
	s_mul_i32 s63, s61, s0
	s_mul_hi_u32 s5, s61, s5
	s_mul_hi_u32 s62, s61, s0
	s_add_u32 s5, s5, s63
	s_addc_u32 s62, 0, s62
	s_add_u32 s5, s5, s60
	s_mul_hi_u32 s1, s59, s0
	s_addc_u32 s5, s62, s58
	s_addc_u32 s1, s1, 0
	s_mul_i32 s0, s59, s0
	s_add_u32 s0, s5, s0
	s_addc_u32 s5, 0, s1
	s_add_u32 s58, s61, s0
	s_cselect_b64 s[0:1], -1, 0
	v_ashrrev_i32_e32 v3, 31, v13
	s_cmp_lg_u64 s[0:1], 0
	v_add_co_u32_e32 v20, vcc, v12, v3
	s_addc_u32 s5, s59, s5
	v_xor_b32_e32 v26, v20, v3
	v_mad_u64_u32 v[20:21], s[0:1], v26, s5, 0
	v_mul_hi_u32 v25, v26, s58
	v_addc_co_u32_e32 v24, vcc, v13, v3, vcc
	v_xor_b32_e32 v27, v24, v3
	v_add_co_u32_e32 v28, vcc, v25, v20
	v_addc_co_u32_e32 v29, vcc, 0, v21, vcc
	v_mad_u64_u32 v[20:21], s[0:1], v27, s58, 0
	v_mad_u64_u32 v[24:25], s[0:1], v27, s5, 0
	v_add_co_u32_e32 v20, vcc, v28, v20
	v_addc_co_u32_e32 v20, vcc, v29, v21, vcc
	v_addc_co_u32_e32 v21, vcc, 0, v25, vcc
	v_add_co_u32_e32 v24, vcc, v20, v24
	v_addc_co_u32_e32 v25, vcc, 0, v21, vcc
	v_mul_lo_u32 v28, s57, v24
	v_mul_lo_u32 v29, s56, v25
	v_mad_u64_u32 v[20:21], s[0:1], s56, v24, 0
	v_xor_b32_e32 v3, s4, v3
	v_add3_u32 v21, v21, v29, v28
	v_sub_u32_e32 v28, v27, v21
	v_mov_b32_e32 v29, s57
	v_sub_co_u32_e32 v20, vcc, v26, v20
	v_subb_co_u32_e64 v26, s[0:1], v28, v29, vcc
	v_subrev_co_u32_e64 v28, s[0:1], s56, v20
	v_subbrev_co_u32_e64 v26, s[0:1], 0, v26, s[0:1]
	v_cmp_le_u32_e64 s[0:1], s57, v26
	v_cndmask_b32_e64 v29, 0, -1, s[0:1]
	v_cmp_le_u32_e64 s[0:1], s56, v28
	v_cndmask_b32_e64 v28, 0, -1, s[0:1]
	v_cmp_eq_u32_e64 s[0:1], s57, v26
	v_cndmask_b32_e64 v26, v29, v28, s[0:1]
	v_add_co_u32_e64 v28, s[0:1], 2, v24
	v_subb_co_u32_e32 v21, vcc, v27, v21, vcc
	v_addc_co_u32_e64 v29, s[0:1], 0, v25, s[0:1]
	v_cmp_le_u32_e32 vcc, s57, v21
	v_add_co_u32_e64 v30, s[0:1], 1, v24
	v_cndmask_b32_e64 v27, 0, -1, vcc
	v_cmp_le_u32_e32 vcc, s56, v20
	v_addc_co_u32_e64 v31, s[0:1], 0, v25, s[0:1]
	v_cndmask_b32_e64 v20, 0, -1, vcc
	v_cmp_eq_u32_e32 vcc, s57, v21
	v_cmp_ne_u32_e64 s[0:1], 0, v26
	v_cndmask_b32_e32 v20, v27, v20, vcc
	v_cndmask_b32_e64 v26, v31, v29, s[0:1]
	v_cmp_ne_u32_e32 vcc, 0, v20
	v_cndmask_b32_e64 v21, v30, v28, s[0:1]
	v_cndmask_b32_e32 v20, v25, v26, vcc
	v_cndmask_b32_e32 v21, v24, v21, vcc
	v_xor_b32_e32 v24, v20, v3
	v_xor_b32_e32 v20, v21, v3
	v_sub_co_u32_e32 v20, vcc, v20, v3
	v_subb_co_u32_e32 v21, vcc, v24, v3, vcc
.LBB0_38:                               ;   in Loop: Header=BB0_4 Depth=1
	s_andn2_saveexec_b64 s[0:1], s[2:3]
	s_cbranch_execz .LBB0_40
; %bb.39:                               ;   in Loop: Header=BB0_4 Depth=1
	v_cvt_f32_u32_e32 v3, s40
	s_sub_i32 s2, 0, s40
	v_rcp_iflag_f32_e32 v3, v3
	v_mul_f32_e32 v3, 0x4f7ffffe, v3
	v_cvt_u32_f32_e32 v3, v3
	v_mul_lo_u32 v20, s2, v3
	v_mul_hi_u32 v20, v3, v20
	v_add_u32_e32 v3, v3, v20
	v_mul_hi_u32 v3, v12, v3
	v_mul_lo_u32 v20, v3, s40
	v_add_u32_e32 v21, 1, v3
	v_sub_u32_e32 v20, v12, v20
	v_subrev_u32_e32 v24, s40, v20
	v_cmp_le_u32_e32 vcc, s40, v20
	v_cndmask_b32_e32 v20, v20, v24, vcc
	v_cndmask_b32_e32 v3, v3, v21, vcc
	v_add_u32_e32 v21, 1, v3
	v_cmp_le_u32_e32 vcc, s40, v20
	v_cndmask_b32_e32 v20, v3, v21, vcc
	v_mov_b32_e32 v21, v2
.LBB0_40:                               ;   in Loop: Header=BB0_4 Depth=1
	s_or_b64 exec, exec, s[0:1]
	v_add_co_u32_e32 v20, vcc, 1, v20
	v_addc_co_u32_e32 v21, vcc, 0, v21, vcc
	v_cmp_gt_i64_e32 vcc, s[48:49], v[20:21]
	v_mov_b32_e32 v3, s49
	v_cndmask_b32_e32 v21, v3, v21, vcc
	v_mov_b32_e32 v3, s48
	v_cndmask_b32_e32 v20, v3, v20, vcc
	v_cmp_lt_i64_e32 vcc, v[18:19], v[20:21]
	v_mov_b32_e32 v24, 0
	v_mov_b32_e32 v25, 0
	s_and_saveexec_b64 s[56:57], vcc
	s_cbranch_execz .LBB0_3
; %bb.41:                               ;   in Loop: Header=BB0_4 Depth=1
	v_lshlrev_b64 v[24:25], 3, v[10:11]
	v_add_co_u32_e32 v22, vcc, 1, v22
	v_addc_co_u32_e32 v23, vcc, 0, v23, vcc
	v_mul_lo_u32 v26, v15, s20
	v_mul_lo_u32 v27, v14, s21
	v_mad_u64_u32 v[14:15], s[0:1], v14, s20, 0
	v_mul_lo_u32 v28, s12, v5
	v_mul_lo_u32 v29, s13, v4
	v_mad_u64_u32 v[24:25], s[0:1], s12, v4, v[24:25]
	v_cmp_gt_i64_e32 vcc, s[50:51], v[22:23]
	v_mov_b32_e32 v3, s51
	v_cndmask_b32_e32 v23, v3, v23, vcc
	v_mov_b32_e32 v3, s50
	v_cndmask_b32_e32 v22, v3, v22, vcc
	v_add3_u32 v15, v15, v27, v26
	v_add3_u32 v3, v29, v25, v28
	v_mov_b32_e32 v25, s11
	v_add_co_u32_e32 v26, vcc, s10, v24
	v_addc_co_u32_e32 v27, vcc, v25, v3, vcc
	v_mul_lo_u32 v28, s43, v10
	v_mul_lo_u32 v29, s42, v11
	v_mad_u64_u32 v[24:25], s[2:3], s42, v10, 0
	v_mov_b32_e32 v3, s39
	v_add_co_u32_e32 v30, vcc, s38, v0
	v_addc_co_u32_e32 v3, vcc, v3, v1, vcc
	v_add3_u32 v25, v25, v29, v28
	v_sub_co_u32_e32 v24, vcc, v30, v24
	v_subb_co_u32_e32 v3, vcc, v3, v25, vcc
	v_sub_co_u32_e32 v16, vcc, v24, v16
	v_subb_co_u32_e32 v3, vcc, v3, v17, vcc
	v_cmp_lt_i64_e64 s[0:1], v[10:11], v[22:23]
	v_sub_co_u32_e32 v8, vcc, v16, v8
	v_mov_b32_e32 v24, 0
	v_subb_co_u32_e32 v9, vcc, v3, v9, vcc
	v_mov_b32_e32 v25, 0
	s_mov_b64 s[58:59], 0
	s_branch .LBB0_44
.LBB0_42:                               ;   in Loop: Header=BB0_44 Depth=2
	s_or_b64 exec, exec, s[62:63]
.LBB0_43:                               ;   in Loop: Header=BB0_44 Depth=2
	s_or_b64 exec, exec, s[60:61]
	v_add_co_u32_e32 v18, vcc, 1, v18
	v_addc_co_u32_e32 v19, vcc, 0, v19, vcc
	v_cmp_ge_i64_e32 vcc, v[18:19], v[20:21]
	s_or_b64 s[58:59], vcc, s[58:59]
	s_andn2_b64 exec, exec, s[58:59]
	s_cbranch_execz .LBB0_2
.LBB0_44:                               ;   Parent Loop BB0_4 Depth=1
                                        ; =>  This Loop Header: Depth=2
                                        ;       Child Loop BB0_52 Depth 3
	s_and_saveexec_b64 s[60:61], s[0:1]
	s_cbranch_execz .LBB0_43
; %bb.45:                               ;   in Loop: Header=BB0_44 Depth=2
	v_mul_lo_u32 v3, v19, s40
	v_mul_lo_u32 v28, v18, s41
	v_mad_u64_u32 v[16:17], s[2:3], v18, s40, 0
	v_add3_u32 v3, v17, v28, v3
	v_sub_co_u32_e32 v28, vcc, v12, v16
	v_subb_co_u32_e32 v29, vcc, v13, v3, vcc
	v_or_b32_e32 v3, s45, v29
	v_cmp_ne_u64_e32 vcc, 0, v[2:3]
                                        ; implicit-def: $vgpr16_vgpr17
	s_and_saveexec_b64 s[2:3], vcc
	s_xor_b64 s[4:5], exec, s[2:3]
	s_cbranch_execz .LBB0_47
; %bb.46:                               ;   in Loop: Header=BB0_44 Depth=2
	s_ashr_i32 s62, s45, 31
	s_add_u32 s2, s44, s62
	s_mov_b32 s63, s62
	s_addc_u32 s3, s45, s62
	s_xor_b64 s[64:65], s[2:3], s[62:63]
	v_cvt_f32_u32_e32 v3, s64
	v_cvt_f32_u32_e32 v16, s65
	s_sub_u32 s63, 0, s64
	s_subb_u32 s66, 0, s65
	v_mac_f32_e32 v3, 0x4f800000, v16
	v_rcp_f32_e32 v3, v3
	v_mul_f32_e32 v3, 0x5f7ffffc, v3
	v_mul_f32_e32 v16, 0x2f800000, v3
	v_trunc_f32_e32 v16, v16
	v_mac_f32_e32 v3, 0xcf800000, v16
	v_cvt_u32_f32_e32 v16, v16
	v_cvt_u32_f32_e32 v3, v3
	v_readfirstlane_b32 s67, v16
	v_readfirstlane_b32 s2, v3
	s_mul_i32 s3, s63, s67
	s_mul_hi_u32 s69, s63, s2
	s_mul_i32 s68, s66, s2
	s_add_i32 s3, s69, s3
	s_add_i32 s3, s3, s68
	s_mul_i32 s70, s63, s2
	s_mul_i32 s69, s2, s3
	s_mul_hi_u32 s71, s2, s70
	s_mul_hi_u32 s68, s2, s3
	s_add_u32 s69, s71, s69
	s_addc_u32 s68, 0, s68
	s_mul_hi_u32 s74, s67, s70
	s_mul_i32 s70, s67, s70
	s_add_u32 s69, s69, s70
	s_mul_hi_u32 s71, s67, s3
	s_addc_u32 s68, s68, s74
	s_addc_u32 s69, s71, 0
	s_mul_i32 s3, s67, s3
	s_add_u32 s3, s68, s3
	s_addc_u32 s68, 0, s69
	s_add_u32 s69, s2, s3
	s_cselect_b64 s[2:3], -1, 0
	s_cmp_lg_u64 s[2:3], 0
	s_addc_u32 s67, s67, s68
	s_mul_i32 s2, s63, s67
	s_mul_hi_u32 s3, s63, s69
	s_add_i32 s2, s3, s2
	s_mul_i32 s66, s66, s69
	s_add_i32 s2, s2, s66
	s_mul_i32 s63, s63, s69
	s_mul_hi_u32 s66, s67, s63
	s_mul_i32 s68, s67, s63
	s_mul_i32 s71, s69, s2
	s_mul_hi_u32 s63, s69, s63
	s_mul_hi_u32 s70, s69, s2
	s_add_u32 s63, s63, s71
	s_addc_u32 s70, 0, s70
	s_add_u32 s63, s63, s68
	s_mul_hi_u32 s3, s67, s2
	s_addc_u32 s63, s70, s66
	s_addc_u32 s3, s3, 0
	s_mul_i32 s2, s67, s2
	s_add_u32 s2, s63, s2
	s_addc_u32 s63, 0, s3
	s_add_u32 s66, s69, s2
	s_cselect_b64 s[2:3], -1, 0
	v_ashrrev_i32_e32 v3, 31, v29
	s_cmp_lg_u64 s[2:3], 0
	v_add_co_u32_e32 v16, vcc, v28, v3
	s_addc_u32 s63, s67, s63
	v_xor_b32_e32 v32, v16, v3
	v_mad_u64_u32 v[16:17], s[2:3], v32, s63, 0
	v_mul_hi_u32 v31, v32, s66
	v_addc_co_u32_e32 v30, vcc, v29, v3, vcc
	v_xor_b32_e32 v33, v30, v3
	v_add_co_u32_e32 v34, vcc, v31, v16
	v_addc_co_u32_e32 v35, vcc, 0, v17, vcc
	v_mad_u64_u32 v[16:17], s[2:3], v33, s66, 0
	v_mad_u64_u32 v[30:31], s[2:3], v33, s63, 0
	v_add_co_u32_e32 v16, vcc, v34, v16
	v_addc_co_u32_e32 v16, vcc, v35, v17, vcc
	v_addc_co_u32_e32 v17, vcc, 0, v31, vcc
	v_add_co_u32_e32 v30, vcc, v16, v30
	v_addc_co_u32_e32 v31, vcc, 0, v17, vcc
	v_mul_lo_u32 v34, s65, v30
	v_mul_lo_u32 v35, s64, v31
	v_mad_u64_u32 v[16:17], s[2:3], s64, v30, 0
	v_xor_b32_e32 v3, s62, v3
	v_add3_u32 v17, v17, v35, v34
	v_sub_u32_e32 v34, v33, v17
	v_mov_b32_e32 v35, s65
	v_sub_co_u32_e32 v16, vcc, v32, v16
	v_subb_co_u32_e64 v32, s[2:3], v34, v35, vcc
	v_subrev_co_u32_e64 v34, s[2:3], s64, v16
	v_subbrev_co_u32_e64 v32, s[2:3], 0, v32, s[2:3]
	v_cmp_le_u32_e64 s[2:3], s65, v32
	v_cndmask_b32_e64 v35, 0, -1, s[2:3]
	v_cmp_le_u32_e64 s[2:3], s64, v34
	v_cndmask_b32_e64 v34, 0, -1, s[2:3]
	v_cmp_eq_u32_e64 s[2:3], s65, v32
	v_cndmask_b32_e64 v32, v35, v34, s[2:3]
	v_add_co_u32_e64 v34, s[2:3], 2, v30
	v_subb_co_u32_e32 v17, vcc, v33, v17, vcc
	v_addc_co_u32_e64 v35, s[2:3], 0, v31, s[2:3]
	v_cmp_le_u32_e32 vcc, s65, v17
	v_add_co_u32_e64 v36, s[2:3], 1, v30
	v_cndmask_b32_e64 v33, 0, -1, vcc
	v_cmp_le_u32_e32 vcc, s64, v16
	v_addc_co_u32_e64 v37, s[2:3], 0, v31, s[2:3]
	v_cndmask_b32_e64 v16, 0, -1, vcc
	v_cmp_eq_u32_e32 vcc, s65, v17
	v_cmp_ne_u32_e64 s[2:3], 0, v32
	v_cndmask_b32_e32 v16, v33, v16, vcc
	v_cndmask_b32_e64 v32, v37, v35, s[2:3]
	v_cmp_ne_u32_e32 vcc, 0, v16
	v_cndmask_b32_e64 v17, v36, v34, s[2:3]
	v_cndmask_b32_e32 v16, v31, v32, vcc
	v_cndmask_b32_e32 v17, v30, v17, vcc
	v_xor_b32_e32 v30, v16, v3
	v_xor_b32_e32 v16, v17, v3
	v_sub_co_u32_e32 v16, vcc, v16, v3
	v_subb_co_u32_e32 v17, vcc, v30, v3, vcc
.LBB0_47:                               ;   in Loop: Header=BB0_44 Depth=2
	s_andn2_saveexec_b64 s[2:3], s[4:5]
	s_cbranch_execz .LBB0_49
; %bb.48:                               ;   in Loop: Header=BB0_44 Depth=2
	v_cvt_f32_u32_e32 v3, s44
	s_sub_i32 s4, 0, s44
	v_rcp_iflag_f32_e32 v3, v3
	v_mul_f32_e32 v3, 0x4f7ffffe, v3
	v_cvt_u32_f32_e32 v3, v3
	v_mul_lo_u32 v16, s4, v3
	v_mul_hi_u32 v16, v3, v16
	v_add_u32_e32 v3, v3, v16
	v_mul_hi_u32 v3, v28, v3
	v_mul_lo_u32 v16, v3, s44
	v_add_u32_e32 v17, 1, v3
	v_sub_u32_e32 v16, v28, v16
	v_subrev_u32_e32 v30, s44, v16
	v_cmp_le_u32_e32 vcc, s44, v16
	v_cndmask_b32_e32 v16, v16, v30, vcc
	v_cndmask_b32_e32 v3, v3, v17, vcc
	v_add_u32_e32 v17, 1, v3
	v_cmp_le_u32_e32 vcc, s44, v16
	v_cndmask_b32_e32 v16, v3, v17, vcc
	v_mov_b32_e32 v17, v2
.LBB0_49:                               ;   in Loop: Header=BB0_44 Depth=2
	s_or_b64 exec, exec, s[2:3]
	v_mul_lo_u32 v3, v17, s44
	v_mul_lo_u32 v32, v16, s45
	v_mad_u64_u32 v[30:31], s[2:3], v16, s44, 0
	v_add_co_u32_e32 v16, vcc, v16, v14
	v_addc_co_u32_e32 v17, vcc, v17, v15, vcc
	v_add3_u32 v3, v31, v32, v3
	v_mul_lo_u32 v31, v17, s22
	v_mul_lo_u32 v32, v16, s23
	v_mad_u64_u32 v[16:17], s[2:3], v16, s22, 0
	v_sub_co_u32_e32 v28, vcc, v28, v30
	v_subb_co_u32_e32 v29, vcc, v29, v3, vcc
	v_cmp_eq_u64_e64 s[2:3], 0, v[28:29]
	v_add3_u32 v17, v17, v32, v31
	v_mov_b32_e32 v29, v9
	v_mov_b32_e32 v31, v27
	;; [unrolled: 1-line block ×3, first 2 shown]
	s_mov_b64 s[62:63], 0
	v_mov_b32_e32 v28, v8
	v_mov_b32_e32 v30, v26
	;; [unrolled: 1-line block ×3, first 2 shown]
	s_branch .LBB0_52
.LBB0_50:                               ;   in Loop: Header=BB0_52 Depth=3
	s_or_b64 exec, exec, s[4:5]
.LBB0_51:                               ;   in Loop: Header=BB0_52 Depth=3
	s_or_b64 exec, exec, s[64:65]
	v_add_co_u32_e32 v32, vcc, 1, v32
	v_addc_co_u32_e32 v33, vcc, 0, v33, vcc
	v_add_co_u32_e32 v30, vcc, 8, v30
	v_addc_co_u32_e32 v31, vcc, 0, v31, vcc
	v_cmp_ge_i64_e32 vcc, v[32:33], v[22:23]
	v_mov_b32_e32 v3, s43
	s_or_b64 s[62:63], vcc, s[62:63]
	v_subrev_co_u32_e32 v28, vcc, s42, v28
	v_subb_co_u32_e32 v29, vcc, v29, v3, vcc
	s_andn2_b64 exec, exec, s[62:63]
	s_cbranch_execz .LBB0_42
.LBB0_52:                               ;   Parent Loop BB0_4 Depth=1
                                        ;     Parent Loop BB0_44 Depth=2
                                        ; =>    This Inner Loop Header: Depth=3
	s_and_saveexec_b64 s[64:65], s[2:3]
	s_cbranch_execz .LBB0_51
; %bb.53:                               ;   in Loop: Header=BB0_52 Depth=3
	v_or_b32_e32 v3, s47, v29
	v_cmp_ne_u64_e32 vcc, 0, v[2:3]
                                        ; implicit-def: $vgpr34_vgpr35
	s_and_saveexec_b64 s[4:5], vcc
	s_xor_b64 s[66:67], exec, s[4:5]
	s_cbranch_execz .LBB0_55
; %bb.54:                               ;   in Loop: Header=BB0_52 Depth=3
	s_ashr_i32 s68, s47, 31
	s_add_u32 s4, s46, s68
	s_mov_b32 s69, s68
	s_addc_u32 s5, s47, s68
	s_xor_b64 s[70:71], s[4:5], s[68:69]
	v_cvt_f32_u32_e32 v3, s70
	v_cvt_f32_u32_e32 v34, s71
	s_sub_u32 s69, 0, s70
	s_subb_u32 s74, 0, s71
	v_mac_f32_e32 v3, 0x4f800000, v34
	v_rcp_f32_e32 v3, v3
	v_mul_f32_e32 v3, 0x5f7ffffc, v3
	v_mul_f32_e32 v34, 0x2f800000, v3
	v_trunc_f32_e32 v34, v34
	v_mac_f32_e32 v3, 0xcf800000, v34
	v_cvt_u32_f32_e32 v34, v34
	v_cvt_u32_f32_e32 v3, v3
	v_readfirstlane_b32 s75, v34
	v_readfirstlane_b32 s4, v3
	s_mul_i32 s5, s69, s75
	s_mul_hi_u32 s77, s69, s4
	s_mul_i32 s76, s74, s4
	s_add_i32 s5, s77, s5
	s_add_i32 s5, s5, s76
	s_mul_i32 s78, s69, s4
	s_mul_i32 s77, s4, s5
	s_mul_hi_u32 s79, s4, s78
	s_mul_hi_u32 s76, s4, s5
	s_add_u32 s77, s79, s77
	s_addc_u32 s76, 0, s76
	s_mul_hi_u32 s80, s75, s78
	s_mul_i32 s78, s75, s78
	s_add_u32 s77, s77, s78
	s_mul_hi_u32 s79, s75, s5
	s_addc_u32 s76, s76, s80
	s_addc_u32 s77, s79, 0
	s_mul_i32 s5, s75, s5
	s_add_u32 s5, s76, s5
	s_addc_u32 s76, 0, s77
	s_add_u32 s77, s4, s5
	s_cselect_b64 s[4:5], -1, 0
	s_cmp_lg_u64 s[4:5], 0
	s_addc_u32 s75, s75, s76
	s_mul_i32 s4, s69, s75
	s_mul_hi_u32 s5, s69, s77
	s_add_i32 s4, s5, s4
	s_mul_i32 s74, s74, s77
	s_add_i32 s4, s4, s74
	s_mul_i32 s69, s69, s77
	s_mul_hi_u32 s74, s75, s69
	s_mul_i32 s76, s75, s69
	s_mul_i32 s79, s77, s4
	s_mul_hi_u32 s69, s77, s69
	s_mul_hi_u32 s78, s77, s4
	s_add_u32 s69, s69, s79
	s_addc_u32 s78, 0, s78
	s_add_u32 s69, s69, s76
	s_mul_hi_u32 s5, s75, s4
	s_addc_u32 s69, s78, s74
	s_addc_u32 s5, s5, 0
	s_mul_i32 s4, s75, s4
	s_add_u32 s4, s69, s4
	s_addc_u32 s69, 0, s5
	s_add_u32 s74, s77, s4
	s_cselect_b64 s[4:5], -1, 0
	v_ashrrev_i32_e32 v3, 31, v29
	s_cmp_lg_u64 s[4:5], 0
	v_add_co_u32_e32 v34, vcc, v28, v3
	s_addc_u32 s69, s75, s69
	v_xor_b32_e32 v38, v34, v3
	v_mad_u64_u32 v[34:35], s[4:5], v38, s69, 0
	v_mul_hi_u32 v37, v38, s74
	v_addc_co_u32_e32 v36, vcc, v29, v3, vcc
	v_xor_b32_e32 v39, v36, v3
	v_add_co_u32_e32 v40, vcc, v37, v34
	v_addc_co_u32_e32 v41, vcc, 0, v35, vcc
	v_mad_u64_u32 v[34:35], s[4:5], v39, s74, 0
	v_mad_u64_u32 v[36:37], s[4:5], v39, s69, 0
	v_add_co_u32_e32 v34, vcc, v40, v34
	v_addc_co_u32_e32 v34, vcc, v41, v35, vcc
	v_addc_co_u32_e32 v35, vcc, 0, v37, vcc
	v_add_co_u32_e32 v36, vcc, v34, v36
	v_addc_co_u32_e32 v37, vcc, 0, v35, vcc
	v_mul_lo_u32 v40, s71, v36
	v_mul_lo_u32 v41, s70, v37
	v_mad_u64_u32 v[34:35], s[4:5], s70, v36, 0
	v_xor_b32_e32 v3, s68, v3
	v_add3_u32 v35, v35, v41, v40
	v_sub_u32_e32 v40, v39, v35
	v_mov_b32_e32 v41, s71
	v_sub_co_u32_e32 v34, vcc, v38, v34
	v_subb_co_u32_e64 v38, s[4:5], v40, v41, vcc
	v_subrev_co_u32_e64 v40, s[4:5], s70, v34
	v_subbrev_co_u32_e64 v38, s[4:5], 0, v38, s[4:5]
	v_cmp_le_u32_e64 s[4:5], s71, v38
	v_cndmask_b32_e64 v41, 0, -1, s[4:5]
	v_cmp_le_u32_e64 s[4:5], s70, v40
	v_cndmask_b32_e64 v40, 0, -1, s[4:5]
	v_cmp_eq_u32_e64 s[4:5], s71, v38
	v_cndmask_b32_e64 v38, v41, v40, s[4:5]
	v_add_co_u32_e64 v40, s[4:5], 2, v36
	v_subb_co_u32_e32 v35, vcc, v39, v35, vcc
	v_addc_co_u32_e64 v41, s[4:5], 0, v37, s[4:5]
	v_cmp_le_u32_e32 vcc, s71, v35
	v_add_co_u32_e64 v42, s[4:5], 1, v36
	v_cndmask_b32_e64 v39, 0, -1, vcc
	v_cmp_le_u32_e32 vcc, s70, v34
	v_addc_co_u32_e64 v43, s[4:5], 0, v37, s[4:5]
	v_cndmask_b32_e64 v34, 0, -1, vcc
	v_cmp_eq_u32_e32 vcc, s71, v35
	v_cmp_ne_u32_e64 s[4:5], 0, v38
	v_cndmask_b32_e32 v34, v39, v34, vcc
	v_cndmask_b32_e64 v38, v43, v41, s[4:5]
	v_cmp_ne_u32_e32 vcc, 0, v34
	v_cndmask_b32_e64 v35, v42, v40, s[4:5]
	v_cndmask_b32_e32 v34, v37, v38, vcc
	v_cndmask_b32_e32 v35, v36, v35, vcc
	v_xor_b32_e32 v36, v34, v3
	v_xor_b32_e32 v34, v35, v3
	v_sub_co_u32_e32 v34, vcc, v34, v3
	v_subb_co_u32_e32 v35, vcc, v36, v3, vcc
.LBB0_55:                               ;   in Loop: Header=BB0_52 Depth=3
	s_andn2_saveexec_b64 s[4:5], s[66:67]
	s_cbranch_execz .LBB0_57
; %bb.56:                               ;   in Loop: Header=BB0_52 Depth=3
	v_cvt_f32_u32_e32 v3, s46
	s_sub_i32 s66, 0, s46
	v_rcp_iflag_f32_e32 v3, v3
	v_mul_f32_e32 v3, 0x4f7ffffe, v3
	v_cvt_u32_f32_e32 v3, v3
	v_mul_lo_u32 v34, s66, v3
	v_mul_hi_u32 v34, v3, v34
	v_add_u32_e32 v3, v3, v34
	v_mul_hi_u32 v3, v28, v3
	v_mul_lo_u32 v34, v3, s46
	v_add_u32_e32 v35, 1, v3
	v_sub_u32_e32 v34, v28, v34
	v_subrev_u32_e32 v36, s46, v34
	v_cmp_le_u32_e32 vcc, s46, v34
	v_cndmask_b32_e32 v34, v34, v36, vcc
	v_cndmask_b32_e32 v3, v3, v35, vcc
	v_add_u32_e32 v35, 1, v3
	v_cmp_le_u32_e32 vcc, s46, v34
	v_cndmask_b32_e32 v34, v3, v35, vcc
	v_mov_b32_e32 v35, v2
.LBB0_57:                               ;   in Loop: Header=BB0_52 Depth=3
	s_or_b64 exec, exec, s[4:5]
	v_mul_lo_u32 v3, v35, s46
	v_mul_lo_u32 v38, v34, s47
	v_mad_u64_u32 v[36:37], s[4:5], v34, s46, 0
	v_add3_u32 v3, v37, v38, v3
	v_sub_co_u32_e32 v36, vcc, v28, v36
	v_subb_co_u32_e32 v37, vcc, v29, v3, vcc
	v_cmp_eq_u64_e32 vcc, 0, v[36:37]
	s_and_saveexec_b64 s[4:5], vcc
	s_cbranch_execz .LBB0_50
; %bb.58:                               ;   in Loop: Header=BB0_52 Depth=3
	v_add_co_u32_e32 v3, vcc, v16, v34
	v_addc_co_u32_e32 v34, vcc, v17, v35, vcc
	v_mul_lo_u32 v36, v3, s49
	v_mul_lo_u32 v37, v34, s48
	v_mad_u64_u32 v[34:35], s[66:67], v3, s48, v[18:19]
	v_add3_u32 v3, v37, v35, v36
	v_mul_lo_u32 v3, s52, v3
	v_mul_lo_u32 v36, s53, v34
	v_mad_u64_u32 v[34:35], s[66:67], s52, v34, v[30:31]
	v_add3_u32 v35, v36, v35, v3
	global_load_dwordx2 v[34:35], v[34:35], off
	s_waitcnt vmcnt(0)
	v_add_f64 v[24:25], v[24:25], v[34:35]
	s_branch .LBB0_50
.LBB0_59:
	s_endpgm
	.section	.rodata,"a",@progbits
	.p2align	6, 0x0
	.amdhsa_kernel _ZN2at6native21col2im_batched_kernelIdEEvlPKT_llllllllllllllPS2_l
		.amdhsa_group_segment_fixed_size 0
		.amdhsa_private_segment_fixed_size 0
		.amdhsa_kernarg_size 400
		.amdhsa_user_sgpr_count 6
		.amdhsa_user_sgpr_private_segment_buffer 1
		.amdhsa_user_sgpr_dispatch_ptr 0
		.amdhsa_user_sgpr_queue_ptr 0
		.amdhsa_user_sgpr_kernarg_segment_ptr 1
		.amdhsa_user_sgpr_dispatch_id 0
		.amdhsa_user_sgpr_flat_scratch_init 0
		.amdhsa_user_sgpr_private_segment_size 0
		.amdhsa_uses_dynamic_stack 0
		.amdhsa_system_sgpr_private_segment_wavefront_offset 0
		.amdhsa_system_sgpr_workgroup_id_x 1
		.amdhsa_system_sgpr_workgroup_id_y 0
		.amdhsa_system_sgpr_workgroup_id_z 0
		.amdhsa_system_sgpr_workgroup_info 0
		.amdhsa_system_vgpr_workitem_id 0
		.amdhsa_next_free_vgpr 44
		.amdhsa_next_free_sgpr 81
		.amdhsa_reserve_vcc 1
		.amdhsa_reserve_flat_scratch 0
		.amdhsa_float_round_mode_32 0
		.amdhsa_float_round_mode_16_64 0
		.amdhsa_float_denorm_mode_32 3
		.amdhsa_float_denorm_mode_16_64 3
		.amdhsa_dx10_clamp 1
		.amdhsa_ieee_mode 1
		.amdhsa_fp16_overflow 0
		.amdhsa_exception_fp_ieee_invalid_op 0
		.amdhsa_exception_fp_denorm_src 0
		.amdhsa_exception_fp_ieee_div_zero 0
		.amdhsa_exception_fp_ieee_overflow 0
		.amdhsa_exception_fp_ieee_underflow 0
		.amdhsa_exception_fp_ieee_inexact 0
		.amdhsa_exception_int_div_zero 0
	.end_amdhsa_kernel
	.section	.text._ZN2at6native21col2im_batched_kernelIdEEvlPKT_llllllllllllllPS2_l,"axG",@progbits,_ZN2at6native21col2im_batched_kernelIdEEvlPKT_llllllllllllllPS2_l,comdat
.Lfunc_end0:
	.size	_ZN2at6native21col2im_batched_kernelIdEEvlPKT_llllllllllllllPS2_l, .Lfunc_end0-_ZN2at6native21col2im_batched_kernelIdEEvlPKT_llllllllllllllPS2_l
                                        ; -- End function
	.set _ZN2at6native21col2im_batched_kernelIdEEvlPKT_llllllllllllllPS2_l.num_vgpr, 44
	.set _ZN2at6native21col2im_batched_kernelIdEEvlPKT_llllllllllllllPS2_l.num_agpr, 0
	.set _ZN2at6native21col2im_batched_kernelIdEEvlPKT_llllllllllllllPS2_l.numbered_sgpr, 81
	.set _ZN2at6native21col2im_batched_kernelIdEEvlPKT_llllllllllllllPS2_l.num_named_barrier, 0
	.set _ZN2at6native21col2im_batched_kernelIdEEvlPKT_llllllllllllllPS2_l.private_seg_size, 0
	.set _ZN2at6native21col2im_batched_kernelIdEEvlPKT_llllllllllllllPS2_l.uses_vcc, 1
	.set _ZN2at6native21col2im_batched_kernelIdEEvlPKT_llllllllllllllPS2_l.uses_flat_scratch, 0
	.set _ZN2at6native21col2im_batched_kernelIdEEvlPKT_llllllllllllllPS2_l.has_dyn_sized_stack, 0
	.set _ZN2at6native21col2im_batched_kernelIdEEvlPKT_llllllllllllllPS2_l.has_recursion, 0
	.set _ZN2at6native21col2im_batched_kernelIdEEvlPKT_llllllllllllllPS2_l.has_indirect_call, 0
	.section	.AMDGPU.csdata,"",@progbits
; Kernel info:
; codeLenInByte = 8548
; TotalNumSgprs: 85
; NumVgprs: 44
; ScratchSize: 0
; MemoryBound: 0
; FloatMode: 240
; IeeeMode: 1
; LDSByteSize: 0 bytes/workgroup (compile time only)
; SGPRBlocks: 10
; VGPRBlocks: 10
; NumSGPRsForWavesPerEU: 85
; NumVGPRsForWavesPerEU: 44
; Occupancy: 5
; WaveLimiterHint : 0
; COMPUTE_PGM_RSRC2:SCRATCH_EN: 0
; COMPUTE_PGM_RSRC2:USER_SGPR: 6
; COMPUTE_PGM_RSRC2:TRAP_HANDLER: 0
; COMPUTE_PGM_RSRC2:TGID_X_EN: 1
; COMPUTE_PGM_RSRC2:TGID_Y_EN: 0
; COMPUTE_PGM_RSRC2:TGID_Z_EN: 0
; COMPUTE_PGM_RSRC2:TIDIG_COMP_CNT: 0
	.section	.text._ZN2at6native21col2im_batched_kernelIfEEvlPKT_llllllllllllllPS2_l,"axG",@progbits,_ZN2at6native21col2im_batched_kernelIfEEvlPKT_llllllllllllllPS2_l,comdat
	.protected	_ZN2at6native21col2im_batched_kernelIfEEvlPKT_llllllllllllllPS2_l ; -- Begin function _ZN2at6native21col2im_batched_kernelIfEEvlPKT_llllllllllllllPS2_l
	.globl	_ZN2at6native21col2im_batched_kernelIfEEvlPKT_llllllllllllllPS2_l
	.p2align	8
	.type	_ZN2at6native21col2im_batched_kernelIfEEvlPKT_llllllllllllllPS2_l,@function
_ZN2at6native21col2im_batched_kernelIfEEvlPKT_llllllllllllllPS2_l: ; @_ZN2at6native21col2im_batched_kernelIfEEvlPKT_llllllllllllllPS2_l
; %bb.0:
	s_load_dwordx16 s[8:23], s[4:5], 0x0
	s_load_dword s2, s[4:5], 0x9c
	v_mov_b32_e32 v2, 0
	v_mov_b32_e32 v1, v2
	;; [unrolled: 1-line block ×3, first 2 shown]
	s_waitcnt lgkmcnt(0)
	s_mul_i32 s0, s14, s9
	s_mul_hi_u32 s1, s14, s8
	s_add_i32 s0, s1, s0
	s_mul_i32 s1, s15, s8
	s_add_i32 s7, s0, s1
	s_add_u32 s0, s4, 0x90
	s_addc_u32 s1, s5, 0
	s_and_b32 s2, s2, 0xffff
	v_mad_u64_u32 v[0:1], s[24:25], s2, v3, v[0:1]
	s_mul_i32 s6, s14, s8
	v_cmp_gt_i64_e32 vcc, s[6:7], v[0:1]
	s_and_saveexec_b64 s[14:15], vcc
	s_cbranch_execz .LBB1_59
; %bb.1:
	s_load_dwordx16 s[36:51], s[4:5], 0x40
	s_load_dwordx4 s[24:27], s[4:5], 0x80
	s_load_dword s3, s[0:1], 0x0
	s_mul_i32 s0, s18, s17
	s_mul_hi_u32 s1, s18, s16
	s_add_i32 s0, s1, s0
	s_mul_i32 s1, s19, s16
	s_add_i32 s33, s0, s1
	s_add_u32 s0, s22, -1
	s_addc_u32 s1, s23, -1
	s_waitcnt lgkmcnt(0)
	s_mul_i32 s1, s46, s1
	s_mul_hi_u32 s4, s46, s0
	s_add_i32 s1, s4, s1
	s_mul_i32 s4, s47, s0
	s_add_i32 s15, s1, s4
	s_mul_i32 s14, s46, s0
	s_add_u32 s0, s20, -1
	s_addc_u32 s1, s21, -1
	s_mul_i32 s1, s44, s1
	s_mul_hi_u32 s4, s44, s0
	s_add_i32 s1, s4, s1
	s_mul_i32 s4, s45, s0
	s_add_i32 s29, s1, s4
	s_mul_i32 s28, s44, s0
	s_mul_i32 s72, s18, s16
	s_not_b64 s[30:31], s[28:29]
	s_not_b64 s[34:35], s[14:15]
	s_mul_i32 s73, s3, s2
	s_lshl_b64 s[52:53], s[50:51], 2
	s_lshl_b64 s[12:13], s[12:13], 2
	s_mov_b64 s[54:55], 0
	s_branch .LBB1_4
.LBB1_2:                                ;   in Loop: Header=BB1_4 Depth=1
	s_or_b64 exec, exec, s[58:59]
.LBB1_3:                                ;   in Loop: Header=BB1_4 Depth=1
	s_or_b64 exec, exec, s[56:57]
	v_mul_lo_u32 v5, v5, s26
	v_mul_lo_u32 v8, v4, s27
	v_mad_u64_u32 v[3:4], s[0:1], v4, s26, 0
	v_add3_u32 v4, v4, v8, v5
	v_lshlrev_b64 v[3:4], 2, v[3:4]
	v_mov_b32_e32 v5, s25
	v_add_co_u32_e32 v8, vcc, s24, v3
	v_addc_co_u32_e32 v5, vcc, v5, v4, vcc
	v_add_co_u32_e32 v0, vcc, s73, v0
	v_lshlrev_b64 v[3:4], 2, v[6:7]
	v_addc_co_u32_e32 v1, vcc, 0, v1, vcc
	v_cmp_le_i64_e32 vcc, s[6:7], v[0:1]
	v_add_co_u32_e64 v3, s[0:1], v8, v3
	v_addc_co_u32_e64 v4, s[0:1], v5, v4, s[0:1]
	s_or_b64 s[54:55], vcc, s[54:55]
	global_store_dword v[3:4], v34, off
	s_andn2_b64 exec, exec, s[54:55]
	s_cbranch_execz .LBB1_59
.LBB1_4:                                ; =>This Loop Header: Depth=1
                                        ;     Child Loop BB1_44 Depth 2
                                        ;       Child Loop BB1_52 Depth 3
	v_or_b32_e32 v3, s9, v1
	v_cmp_ne_u64_e32 vcc, 0, v[2:3]
                                        ; implicit-def: $vgpr4_vgpr5
	s_and_saveexec_b64 s[0:1], vcc
	s_xor_b64 s[2:3], exec, s[0:1]
	s_cbranch_execz .LBB1_6
; %bb.5:                                ;   in Loop: Header=BB1_4 Depth=1
	s_ashr_i32 s4, s9, 31
	s_add_u32 s0, s8, s4
	s_mov_b32 s5, s4
	s_addc_u32 s1, s9, s4
	s_xor_b64 s[56:57], s[0:1], s[4:5]
	v_cvt_f32_u32_e32 v3, s56
	v_cvt_f32_u32_e32 v4, s57
	s_sub_u32 s5, 0, s56
	s_subb_u32 s58, 0, s57
	v_ashrrev_i32_e32 v7, 31, v1
	v_mac_f32_e32 v3, 0x4f800000, v4
	v_rcp_f32_e32 v3, v3
	v_mul_f32_e32 v3, 0x5f7ffffc, v3
	v_mul_f32_e32 v4, 0x2f800000, v3
	v_trunc_f32_e32 v4, v4
	v_mac_f32_e32 v3, 0xcf800000, v4
	v_cvt_u32_f32_e32 v4, v4
	v_cvt_u32_f32_e32 v3, v3
	v_readfirstlane_b32 s59, v4
	v_readfirstlane_b32 s0, v3
	s_mul_i32 s1, s5, s59
	s_mul_hi_u32 s61, s5, s0
	s_mul_i32 s60, s58, s0
	s_add_i32 s1, s61, s1
	s_add_i32 s1, s1, s60
	s_mul_i32 s62, s5, s0
	s_mul_i32 s61, s0, s1
	s_mul_hi_u32 s63, s0, s62
	s_mul_hi_u32 s60, s0, s1
	s_add_u32 s61, s63, s61
	s_addc_u32 s60, 0, s60
	s_mul_hi_u32 s64, s59, s62
	s_mul_i32 s62, s59, s62
	s_add_u32 s61, s61, s62
	s_mul_hi_u32 s63, s59, s1
	s_addc_u32 s60, s60, s64
	s_addc_u32 s61, s63, 0
	s_mul_i32 s1, s59, s1
	s_add_u32 s1, s60, s1
	s_addc_u32 s60, 0, s61
	s_add_u32 s61, s0, s1
	s_cselect_b64 s[0:1], -1, 0
	s_cmp_lg_u64 s[0:1], 0
	s_addc_u32 s59, s59, s60
	s_mul_i32 s0, s5, s59
	s_mul_hi_u32 s1, s5, s61
	s_add_i32 s0, s1, s0
	s_mul_i32 s58, s58, s61
	s_add_i32 s0, s0, s58
	s_mul_i32 s5, s5, s61
	s_mul_hi_u32 s58, s59, s5
	s_mul_i32 s60, s59, s5
	s_mul_i32 s63, s61, s0
	s_mul_hi_u32 s5, s61, s5
	s_mul_hi_u32 s62, s61, s0
	s_add_u32 s5, s5, s63
	s_addc_u32 s62, 0, s62
	s_add_u32 s5, s5, s60
	s_mul_hi_u32 s1, s59, s0
	s_addc_u32 s5, s62, s58
	s_addc_u32 s1, s1, 0
	s_mul_i32 s0, s59, s0
	s_add_u32 s0, s5, s0
	s_addc_u32 s5, 0, s1
	s_add_u32 s58, s61, s0
	s_cselect_b64 s[0:1], -1, 0
	s_cmp_lg_u64 s[0:1], 0
	v_add_co_u32_e32 v3, vcc, v0, v7
	s_addc_u32 s5, s59, s5
	v_xor_b32_e32 v8, v3, v7
	v_mad_u64_u32 v[3:4], s[0:1], v8, s5, 0
	v_mul_hi_u32 v6, v8, s58
	v_addc_co_u32_e32 v5, vcc, v1, v7, vcc
	v_xor_b32_e32 v9, v5, v7
	v_add_co_u32_e32 v10, vcc, v6, v3
	v_addc_co_u32_e32 v11, vcc, 0, v4, vcc
	v_mad_u64_u32 v[3:4], s[0:1], v9, s58, 0
	v_mad_u64_u32 v[5:6], s[0:1], v9, s5, 0
	v_add_co_u32_e32 v3, vcc, v10, v3
	v_addc_co_u32_e32 v3, vcc, v11, v4, vcc
	v_addc_co_u32_e32 v4, vcc, 0, v6, vcc
	v_add_co_u32_e32 v5, vcc, v3, v5
	v_addc_co_u32_e32 v6, vcc, 0, v4, vcc
	v_mul_lo_u32 v10, s57, v5
	v_mul_lo_u32 v11, s56, v6
	v_mad_u64_u32 v[3:4], s[0:1], s56, v5, 0
	v_add3_u32 v4, v4, v11, v10
	v_sub_u32_e32 v10, v9, v4
	v_mov_b32_e32 v11, s57
	v_sub_co_u32_e32 v3, vcc, v8, v3
	v_subb_co_u32_e64 v8, s[0:1], v10, v11, vcc
	v_subrev_co_u32_e64 v10, s[0:1], s56, v3
	v_subbrev_co_u32_e64 v8, s[0:1], 0, v8, s[0:1]
	v_cmp_le_u32_e64 s[0:1], s57, v8
	v_cndmask_b32_e64 v11, 0, -1, s[0:1]
	v_cmp_le_u32_e64 s[0:1], s56, v10
	v_cndmask_b32_e64 v10, 0, -1, s[0:1]
	v_cmp_eq_u32_e64 s[0:1], s57, v8
	v_cndmask_b32_e64 v8, v11, v10, s[0:1]
	v_add_co_u32_e64 v10, s[0:1], 2, v5
	v_subb_co_u32_e32 v4, vcc, v9, v4, vcc
	v_addc_co_u32_e64 v11, s[0:1], 0, v6, s[0:1]
	v_cmp_le_u32_e32 vcc, s57, v4
	v_add_co_u32_e64 v12, s[0:1], 1, v5
	v_cndmask_b32_e64 v9, 0, -1, vcc
	v_cmp_le_u32_e32 vcc, s56, v3
	v_addc_co_u32_e64 v13, s[0:1], 0, v6, s[0:1]
	v_cndmask_b32_e64 v3, 0, -1, vcc
	v_cmp_eq_u32_e32 vcc, s57, v4
	v_cmp_ne_u32_e64 s[0:1], 0, v8
	v_cndmask_b32_e32 v3, v9, v3, vcc
	v_cmp_ne_u32_e32 vcc, 0, v3
	v_cndmask_b32_e64 v4, v12, v10, s[0:1]
	v_cndmask_b32_e64 v8, v13, v11, s[0:1]
	v_cndmask_b32_e32 v4, v5, v4, vcc
	v_xor_b32_e32 v5, s4, v7
	v_cndmask_b32_e32 v3, v6, v8, vcc
	v_xor_b32_e32 v4, v4, v5
	v_xor_b32_e32 v3, v3, v5
	v_sub_co_u32_e32 v4, vcc, v4, v5
	v_subb_co_u32_e32 v5, vcc, v3, v5, vcc
.LBB1_6:                                ;   in Loop: Header=BB1_4 Depth=1
	s_andn2_saveexec_b64 s[0:1], s[2:3]
	s_cbranch_execz .LBB1_8
; %bb.7:                                ;   in Loop: Header=BB1_4 Depth=1
	v_cvt_f32_u32_e32 v3, s8
	s_sub_i32 s2, 0, s8
	v_rcp_iflag_f32_e32 v3, v3
	v_mul_f32_e32 v3, 0x4f7ffffe, v3
	v_cvt_u32_f32_e32 v3, v3
	v_mul_lo_u32 v4, s2, v3
	v_mul_hi_u32 v4, v3, v4
	v_add_u32_e32 v3, v3, v4
	v_mul_hi_u32 v3, v0, v3
	v_mul_lo_u32 v4, v3, s8
	v_add_u32_e32 v5, 1, v3
	v_sub_u32_e32 v4, v0, v4
	v_subrev_u32_e32 v6, s8, v4
	v_cmp_le_u32_e32 vcc, s8, v4
	v_cndmask_b32_e32 v4, v4, v6, vcc
	v_cndmask_b32_e32 v3, v3, v5, vcc
	v_add_u32_e32 v5, 1, v3
	v_cmp_le_u32_e32 vcc, s8, v4
	v_cndmask_b32_e32 v4, v3, v5, vcc
	v_mov_b32_e32 v5, v2
.LBB1_8:                                ;   in Loop: Header=BB1_4 Depth=1
	s_or_b64 exec, exec, s[0:1]
	v_mul_lo_u32 v3, v5, s8
	v_mul_lo_u32 v6, v4, s9
	v_mad_u64_u32 v[8:9], s[0:1], v4, s8, 0
                                        ; implicit-def: $vgpr10_vgpr11
	v_add3_u32 v9, v9, v6, v3
	v_sub_co_u32_e32 v6, vcc, v0, v8
	v_subb_co_u32_e32 v7, vcc, v1, v9, vcc
	v_or_b32_e32 v3, s19, v7
	v_cmp_ne_u64_e32 vcc, 0, v[2:3]
	v_ashrrev_i32_e32 v16, 31, v7
	s_and_saveexec_b64 s[0:1], vcc
	s_xor_b64 s[2:3], exec, s[0:1]
	s_cbranch_execz .LBB1_10
; %bb.9:                                ;   in Loop: Header=BB1_4 Depth=1
	s_ashr_i32 s4, s19, 31
	s_add_u32 s0, s18, s4
	s_mov_b32 s5, s4
	s_addc_u32 s1, s19, s4
	s_xor_b64 s[56:57], s[0:1], s[4:5]
	v_cvt_f32_u32_e32 v3, s56
	v_cvt_f32_u32_e32 v10, s57
	s_sub_u32 s5, 0, s56
	s_subb_u32 s58, 0, s57
	v_mac_f32_e32 v3, 0x4f800000, v10
	v_rcp_f32_e32 v3, v3
	v_mul_f32_e32 v3, 0x5f7ffffc, v3
	v_mul_f32_e32 v10, 0x2f800000, v3
	v_trunc_f32_e32 v10, v10
	v_mac_f32_e32 v3, 0xcf800000, v10
	v_cvt_u32_f32_e32 v10, v10
	v_cvt_u32_f32_e32 v3, v3
	v_readfirstlane_b32 s59, v10
	v_readfirstlane_b32 s0, v3
	s_mul_i32 s1, s5, s59
	s_mul_hi_u32 s61, s5, s0
	s_mul_i32 s60, s58, s0
	s_add_i32 s1, s61, s1
	s_add_i32 s1, s1, s60
	s_mul_i32 s62, s5, s0
	s_mul_i32 s61, s0, s1
	s_mul_hi_u32 s63, s0, s62
	s_mul_hi_u32 s60, s0, s1
	s_add_u32 s61, s63, s61
	s_addc_u32 s60, 0, s60
	s_mul_hi_u32 s64, s59, s62
	s_mul_i32 s62, s59, s62
	s_add_u32 s61, s61, s62
	s_mul_hi_u32 s63, s59, s1
	s_addc_u32 s60, s60, s64
	s_addc_u32 s61, s63, 0
	s_mul_i32 s1, s59, s1
	s_add_u32 s1, s60, s1
	s_addc_u32 s60, 0, s61
	s_add_u32 s61, s0, s1
	s_cselect_b64 s[0:1], -1, 0
	s_cmp_lg_u64 s[0:1], 0
	s_addc_u32 s59, s59, s60
	s_mul_i32 s0, s5, s59
	s_mul_hi_u32 s1, s5, s61
	s_add_i32 s0, s1, s0
	s_mul_i32 s58, s58, s61
	s_add_i32 s0, s0, s58
	s_mul_i32 s5, s5, s61
	s_mul_hi_u32 s58, s59, s5
	s_mul_i32 s60, s59, s5
	s_mul_i32 s63, s61, s0
	s_mul_hi_u32 s5, s61, s5
	s_mul_hi_u32 s62, s61, s0
	s_add_u32 s5, s5, s63
	s_addc_u32 s62, 0, s62
	s_add_u32 s5, s5, s60
	s_mul_hi_u32 s1, s59, s0
	s_addc_u32 s5, s62, s58
	s_addc_u32 s1, s1, 0
	s_mul_i32 s0, s59, s0
	s_add_u32 s0, s5, s0
	s_addc_u32 s5, 0, s1
	s_add_u32 s58, s61, s0
	s_cselect_b64 s[0:1], -1, 0
	s_cmp_lg_u64 s[0:1], 0
	v_add_co_u32_e32 v3, vcc, v6, v16
	s_addc_u32 s5, s59, s5
	v_xor_b32_e32 v3, v3, v16
	v_mad_u64_u32 v[10:11], s[0:1], v3, s5, 0
	v_mul_hi_u32 v13, v3, s58
	v_addc_co_u32_e32 v12, vcc, v7, v16, vcc
	v_xor_b32_e32 v14, v12, v16
	v_add_co_u32_e32 v15, vcc, v13, v10
	v_addc_co_u32_e32 v17, vcc, 0, v11, vcc
	v_mad_u64_u32 v[10:11], s[0:1], v14, s58, 0
	v_mad_u64_u32 v[12:13], s[0:1], v14, s5, 0
	v_add_co_u32_e32 v10, vcc, v15, v10
	v_addc_co_u32_e32 v10, vcc, v17, v11, vcc
	v_addc_co_u32_e32 v11, vcc, 0, v13, vcc
	v_add_co_u32_e32 v12, vcc, v10, v12
	v_addc_co_u32_e32 v13, vcc, 0, v11, vcc
	v_mul_lo_u32 v15, s57, v12
	v_mul_lo_u32 v17, s56, v13
	v_mad_u64_u32 v[10:11], s[0:1], s56, v12, 0
	v_add3_u32 v11, v11, v17, v15
	v_sub_u32_e32 v15, v14, v11
	v_mov_b32_e32 v17, s57
	v_sub_co_u32_e32 v3, vcc, v3, v10
	v_subb_co_u32_e64 v10, s[0:1], v15, v17, vcc
	v_subrev_co_u32_e64 v15, s[0:1], s56, v3
	v_subbrev_co_u32_e64 v10, s[0:1], 0, v10, s[0:1]
	v_cmp_le_u32_e64 s[0:1], s57, v10
	v_cndmask_b32_e64 v17, 0, -1, s[0:1]
	v_cmp_le_u32_e64 s[0:1], s56, v15
	v_cndmask_b32_e64 v15, 0, -1, s[0:1]
	v_cmp_eq_u32_e64 s[0:1], s57, v10
	v_cndmask_b32_e64 v10, v17, v15, s[0:1]
	v_add_co_u32_e64 v15, s[0:1], 2, v12
	v_subb_co_u32_e32 v11, vcc, v14, v11, vcc
	v_addc_co_u32_e64 v17, s[0:1], 0, v13, s[0:1]
	v_cmp_le_u32_e32 vcc, s57, v11
	v_add_co_u32_e64 v18, s[0:1], 1, v12
	v_cndmask_b32_e64 v14, 0, -1, vcc
	v_cmp_le_u32_e32 vcc, s56, v3
	v_addc_co_u32_e64 v19, s[0:1], 0, v13, s[0:1]
	v_cndmask_b32_e64 v3, 0, -1, vcc
	v_cmp_eq_u32_e32 vcc, s57, v11
	v_cmp_ne_u32_e64 s[0:1], 0, v10
	v_cndmask_b32_e32 v3, v14, v3, vcc
	v_cndmask_b32_e64 v10, v19, v17, s[0:1]
	v_cmp_ne_u32_e32 vcc, 0, v3
	v_cndmask_b32_e32 v3, v13, v10, vcc
	v_cndmask_b32_e64 v10, v18, v15, s[0:1]
	v_cndmask_b32_e32 v10, v12, v10, vcc
	v_xor_b32_e32 v11, s4, v16
	v_xor_b32_e32 v10, v10, v11
	;; [unrolled: 1-line block ×3, first 2 shown]
	v_sub_co_u32_e32 v10, vcc, v10, v11
	v_subb_co_u32_e32 v11, vcc, v3, v11, vcc
.LBB1_10:                               ;   in Loop: Header=BB1_4 Depth=1
	s_andn2_saveexec_b64 s[0:1], s[2:3]
	s_cbranch_execz .LBB1_12
; %bb.11:                               ;   in Loop: Header=BB1_4 Depth=1
	v_cvt_f32_u32_e32 v3, s18
	s_sub_i32 s2, 0, s18
	v_rcp_iflag_f32_e32 v3, v3
	v_mul_f32_e32 v3, 0x4f7ffffe, v3
	v_cvt_u32_f32_e32 v3, v3
	v_mul_lo_u32 v10, s2, v3
	v_mul_hi_u32 v10, v3, v10
	v_add_u32_e32 v3, v3, v10
	v_mul_hi_u32 v3, v6, v3
	v_mul_lo_u32 v10, v3, s18
	v_add_u32_e32 v11, 1, v3
	v_sub_u32_e32 v10, v6, v10
	v_subrev_u32_e32 v12, s18, v10
	v_cmp_le_u32_e32 vcc, s18, v10
	v_cndmask_b32_e32 v10, v10, v12, vcc
	v_cndmask_b32_e32 v3, v3, v11, vcc
	v_add_u32_e32 v11, 1, v3
	v_cmp_le_u32_e32 vcc, s18, v10
	v_cndmask_b32_e32 v10, v3, v11, vcc
	v_mov_b32_e32 v11, v2
.LBB1_12:                               ;   in Loop: Header=BB1_4 Depth=1
	s_or_b64 exec, exec, s[0:1]
	v_or_b32_e32 v3, s17, v11
	v_cmp_ne_u64_e32 vcc, 0, v[2:3]
                                        ; implicit-def: $vgpr12_vgpr13
	s_and_saveexec_b64 s[0:1], vcc
	s_xor_b64 s[4:5], exec, s[0:1]
	s_cbranch_execz .LBB1_14
; %bb.13:                               ;   in Loop: Header=BB1_4 Depth=1
	s_ashr_i32 s0, s17, 31
	s_add_u32 s2, s16, s0
	s_mov_b32 s1, s0
	s_addc_u32 s3, s17, s0
	s_xor_b64 s[56:57], s[2:3], s[0:1]
	v_cvt_f32_u32_e32 v3, s56
	v_cvt_f32_u32_e32 v12, s57
	s_sub_u32 s2, 0, s56
	s_subb_u32 s3, 0, s57
	v_mac_f32_e32 v3, 0x4f800000, v12
	v_rcp_f32_e32 v3, v3
	v_mul_f32_e32 v3, 0x5f7ffffc, v3
	v_mul_f32_e32 v12, 0x2f800000, v3
	v_trunc_f32_e32 v12, v12
	v_mac_f32_e32 v3, 0xcf800000, v12
	v_cvt_u32_f32_e32 v12, v12
	v_cvt_u32_f32_e32 v3, v3
	v_readfirstlane_b32 s58, v12
	v_readfirstlane_b32 s0, v3
	s_mul_i32 s1, s2, s58
	s_mul_hi_u32 s60, s2, s0
	s_mul_i32 s59, s3, s0
	s_add_i32 s1, s60, s1
	s_add_i32 s1, s1, s59
	s_mul_i32 s61, s2, s0
	s_mul_i32 s60, s0, s1
	s_mul_hi_u32 s62, s0, s61
	s_mul_hi_u32 s59, s0, s1
	s_add_u32 s60, s62, s60
	s_addc_u32 s59, 0, s59
	s_mul_hi_u32 s63, s58, s61
	s_mul_i32 s61, s58, s61
	s_add_u32 s60, s60, s61
	s_mul_hi_u32 s62, s58, s1
	s_addc_u32 s59, s59, s63
	s_addc_u32 s60, s62, 0
	s_mul_i32 s1, s58, s1
	s_add_u32 s1, s59, s1
	s_addc_u32 s59, 0, s60
	s_add_u32 s60, s0, s1
	s_cselect_b64 s[0:1], -1, 0
	s_cmp_lg_u64 s[0:1], 0
	s_addc_u32 s58, s58, s59
	s_mul_i32 s0, s2, s58
	s_mul_hi_u32 s1, s2, s60
	s_add_i32 s0, s1, s0
	s_mul_i32 s3, s3, s60
	s_add_i32 s0, s0, s3
	s_mul_i32 s2, s2, s60
	s_mul_hi_u32 s3, s58, s2
	s_mul_i32 s59, s58, s2
	s_mul_i32 s62, s60, s0
	s_mul_hi_u32 s2, s60, s2
	s_mul_hi_u32 s61, s60, s0
	s_add_u32 s2, s2, s62
	s_addc_u32 s61, 0, s61
	s_add_u32 s2, s2, s59
	s_mul_hi_u32 s1, s58, s0
	s_addc_u32 s2, s61, s3
	s_addc_u32 s1, s1, 0
	s_mul_i32 s0, s58, s0
	s_add_u32 s0, s2, s0
	s_addc_u32 s2, 0, s1
	s_add_u32 s3, s60, s0
	s_cselect_b64 s[0:1], -1, 0
	v_ashrrev_i32_e32 v3, 31, v11
	s_cmp_lg_u64 s[0:1], 0
	v_add_co_u32_e32 v12, vcc, v10, v3
	s_addc_u32 s2, s58, s2
	v_xor_b32_e32 v17, v12, v3
	v_mad_u64_u32 v[12:13], s[0:1], v17, s2, 0
	v_mul_hi_u32 v15, v17, s3
	v_addc_co_u32_e32 v14, vcc, v11, v3, vcc
	v_xor_b32_e32 v18, v14, v3
	v_add_co_u32_e32 v19, vcc, v15, v12
	v_addc_co_u32_e32 v20, vcc, 0, v13, vcc
	v_mad_u64_u32 v[12:13], s[0:1], v18, s3, 0
	v_mad_u64_u32 v[14:15], s[0:1], v18, s2, 0
	v_add_co_u32_e32 v12, vcc, v19, v12
	v_addc_co_u32_e32 v12, vcc, v20, v13, vcc
	v_addc_co_u32_e32 v13, vcc, 0, v15, vcc
	v_add_co_u32_e32 v12, vcc, v12, v14
	v_addc_co_u32_e32 v13, vcc, 0, v13, vcc
	v_mul_lo_u32 v14, s57, v12
	v_mul_lo_u32 v15, s56, v13
	v_mad_u64_u32 v[12:13], s[0:1], s56, v12, 0
	v_add3_u32 v13, v13, v15, v14
	v_sub_u32_e32 v14, v18, v13
	v_mov_b32_e32 v15, s57
	v_sub_co_u32_e32 v12, vcc, v17, v12
	v_subb_co_u32_e64 v14, s[0:1], v14, v15, vcc
	v_subrev_co_u32_e64 v17, s[0:1], s56, v12
	v_subbrev_co_u32_e64 v19, s[2:3], 0, v14, s[0:1]
	v_cmp_le_u32_e64 s[2:3], s57, v19
	v_cndmask_b32_e64 v20, 0, -1, s[2:3]
	v_cmp_le_u32_e64 s[2:3], s56, v17
	v_subb_co_u32_e64 v14, s[0:1], v14, v15, s[0:1]
	v_cndmask_b32_e64 v21, 0, -1, s[2:3]
	v_cmp_eq_u32_e64 s[2:3], s57, v19
	v_subrev_co_u32_e64 v15, s[0:1], s56, v17
	v_subb_co_u32_e32 v13, vcc, v18, v13, vcc
	v_cndmask_b32_e64 v20, v20, v21, s[2:3]
	v_subbrev_co_u32_e64 v14, s[0:1], 0, v14, s[0:1]
	v_cmp_le_u32_e32 vcc, s57, v13
	v_cmp_ne_u32_e64 s[0:1], 0, v20
	v_cndmask_b32_e64 v18, 0, -1, vcc
	v_cmp_le_u32_e32 vcc, s56, v12
	v_cndmask_b32_e64 v14, v19, v14, s[0:1]
	v_cndmask_b32_e64 v19, 0, -1, vcc
	v_cmp_eq_u32_e32 vcc, s57, v13
	v_cndmask_b32_e32 v18, v18, v19, vcc
	v_cmp_ne_u32_e32 vcc, 0, v18
	v_cndmask_b32_e32 v13, v13, v14, vcc
	v_cndmask_b32_e64 v14, v17, v15, s[0:1]
	v_cndmask_b32_e32 v12, v12, v14, vcc
	v_xor_b32_e32 v12, v12, v3
	v_xor_b32_e32 v13, v13, v3
	v_sub_co_u32_e32 v12, vcc, v12, v3
	v_subb_co_u32_e32 v13, vcc, v13, v3, vcc
.LBB1_14:                               ;   in Loop: Header=BB1_4 Depth=1
	s_andn2_saveexec_b64 s[0:1], s[4:5]
	s_cbranch_execz .LBB1_16
; %bb.15:                               ;   in Loop: Header=BB1_4 Depth=1
	v_cvt_f32_u32_e32 v3, s16
	s_sub_i32 s2, 0, s16
	v_mov_b32_e32 v13, v2
	v_rcp_iflag_f32_e32 v3, v3
	v_mul_f32_e32 v3, 0x4f7ffffe, v3
	v_cvt_u32_f32_e32 v3, v3
	v_mul_lo_u32 v12, s2, v3
	v_mul_hi_u32 v12, v3, v12
	v_add_u32_e32 v3, v3, v12
	v_mul_hi_u32 v3, v10, v3
	v_mul_lo_u32 v3, v3, s16
	v_sub_u32_e32 v3, v10, v3
	v_subrev_u32_e32 v12, s16, v3
	v_cmp_le_u32_e32 vcc, s16, v3
	v_cndmask_b32_e32 v3, v3, v12, vcc
	v_subrev_u32_e32 v12, s16, v3
	v_cmp_le_u32_e32 vcc, s16, v3
	v_cndmask_b32_e32 v12, v3, v12, vcc
.LBB1_16:                               ;   in Loop: Header=BB1_4 Depth=1
	s_or_b64 exec, exec, s[0:1]
	v_or_b32_e32 v3, s33, v7
	v_cmp_ne_u64_e32 vcc, 0, v[2:3]
                                        ; implicit-def: $vgpr14_vgpr15
	s_and_saveexec_b64 s[0:1], vcc
	s_xor_b64 s[2:3], exec, s[0:1]
	s_cbranch_execz .LBB1_18
; %bb.17:                               ;   in Loop: Header=BB1_4 Depth=1
	s_ashr_i32 s4, s33, 31
	s_add_u32 s0, s72, s4
	s_mov_b32 s5, s4
	s_addc_u32 s1, s33, s4
	s_xor_b64 s[56:57], s[0:1], s[4:5]
	v_cvt_f32_u32_e32 v3, s56
	v_cvt_f32_u32_e32 v14, s57
	s_sub_u32 s5, 0, s56
	s_subb_u32 s58, 0, s57
	v_mac_f32_e32 v3, 0x4f800000, v14
	v_rcp_f32_e32 v3, v3
	v_mul_f32_e32 v3, 0x5f7ffffc, v3
	v_mul_f32_e32 v14, 0x2f800000, v3
	v_trunc_f32_e32 v14, v14
	v_mac_f32_e32 v3, 0xcf800000, v14
	v_cvt_u32_f32_e32 v14, v14
	v_cvt_u32_f32_e32 v3, v3
	v_readfirstlane_b32 s59, v14
	v_readfirstlane_b32 s0, v3
	s_mul_i32 s1, s5, s59
	s_mul_hi_u32 s61, s5, s0
	s_mul_i32 s60, s58, s0
	s_add_i32 s1, s61, s1
	s_add_i32 s1, s1, s60
	s_mul_i32 s62, s5, s0
	s_mul_i32 s61, s0, s1
	s_mul_hi_u32 s63, s0, s62
	s_mul_hi_u32 s60, s0, s1
	s_add_u32 s61, s63, s61
	s_addc_u32 s60, 0, s60
	s_mul_hi_u32 s64, s59, s62
	s_mul_i32 s62, s59, s62
	s_add_u32 s61, s61, s62
	s_mul_hi_u32 s63, s59, s1
	s_addc_u32 s60, s60, s64
	s_addc_u32 s61, s63, 0
	s_mul_i32 s1, s59, s1
	s_add_u32 s1, s60, s1
	s_addc_u32 s60, 0, s61
	s_add_u32 s61, s0, s1
	s_cselect_b64 s[0:1], -1, 0
	s_cmp_lg_u64 s[0:1], 0
	s_addc_u32 s59, s59, s60
	s_mul_i32 s0, s5, s59
	s_mul_hi_u32 s1, s5, s61
	s_add_i32 s0, s1, s0
	s_mul_i32 s58, s58, s61
	s_add_i32 s0, s0, s58
	s_mul_i32 s5, s5, s61
	s_mul_hi_u32 s58, s59, s5
	s_mul_i32 s60, s59, s5
	s_mul_i32 s63, s61, s0
	s_mul_hi_u32 s5, s61, s5
	s_mul_hi_u32 s62, s61, s0
	s_add_u32 s5, s5, s63
	s_addc_u32 s62, 0, s62
	s_add_u32 s5, s5, s60
	s_mul_hi_u32 s1, s59, s0
	s_addc_u32 s5, s62, s58
	s_addc_u32 s1, s1, 0
	s_mul_i32 s0, s59, s0
	s_add_u32 s0, s5, s0
	s_addc_u32 s5, 0, s1
	s_add_u32 s58, s61, s0
	s_cselect_b64 s[0:1], -1, 0
	s_cmp_lg_u64 s[0:1], 0
	v_add_co_u32_e32 v3, vcc, v6, v16
	s_addc_u32 s5, s59, s5
	v_xor_b32_e32 v3, v3, v16
	v_mad_u64_u32 v[14:15], s[0:1], v3, s5, 0
	v_mul_hi_u32 v18, v3, s58
	v_addc_co_u32_e32 v17, vcc, v7, v16, vcc
	v_xor_b32_e32 v19, v17, v16
	v_add_co_u32_e32 v20, vcc, v18, v14
	v_addc_co_u32_e32 v21, vcc, 0, v15, vcc
	v_mad_u64_u32 v[14:15], s[0:1], v19, s58, 0
	v_mad_u64_u32 v[17:18], s[0:1], v19, s5, 0
	v_add_co_u32_e32 v14, vcc, v20, v14
	v_addc_co_u32_e32 v14, vcc, v21, v15, vcc
	v_addc_co_u32_e32 v15, vcc, 0, v18, vcc
	v_add_co_u32_e32 v17, vcc, v14, v17
	v_addc_co_u32_e32 v18, vcc, 0, v15, vcc
	v_mul_lo_u32 v20, s57, v17
	v_mul_lo_u32 v21, s56, v18
	v_mad_u64_u32 v[14:15], s[0:1], s56, v17, 0
	v_add3_u32 v15, v15, v21, v20
	v_sub_u32_e32 v20, v19, v15
	v_mov_b32_e32 v21, s57
	v_sub_co_u32_e32 v3, vcc, v3, v14
	v_subb_co_u32_e64 v14, s[0:1], v20, v21, vcc
	v_subrev_co_u32_e64 v20, s[0:1], s56, v3
	v_subbrev_co_u32_e64 v14, s[0:1], 0, v14, s[0:1]
	v_cmp_le_u32_e64 s[0:1], s57, v14
	v_cndmask_b32_e64 v21, 0, -1, s[0:1]
	v_cmp_le_u32_e64 s[0:1], s56, v20
	v_cndmask_b32_e64 v20, 0, -1, s[0:1]
	v_cmp_eq_u32_e64 s[0:1], s57, v14
	v_cndmask_b32_e64 v14, v21, v20, s[0:1]
	v_add_co_u32_e64 v20, s[0:1], 2, v17
	v_subb_co_u32_e32 v15, vcc, v19, v15, vcc
	v_addc_co_u32_e64 v21, s[0:1], 0, v18, s[0:1]
	v_cmp_le_u32_e32 vcc, s57, v15
	v_add_co_u32_e64 v22, s[0:1], 1, v17
	v_cndmask_b32_e64 v19, 0, -1, vcc
	v_cmp_le_u32_e32 vcc, s56, v3
	v_addc_co_u32_e64 v23, s[0:1], 0, v18, s[0:1]
	v_cndmask_b32_e64 v3, 0, -1, vcc
	v_cmp_eq_u32_e32 vcc, s57, v15
	v_cmp_ne_u32_e64 s[0:1], 0, v14
	v_cndmask_b32_e32 v3, v19, v3, vcc
	v_cndmask_b32_e64 v14, v23, v21, s[0:1]
	v_cmp_ne_u32_e32 vcc, 0, v3
	v_cndmask_b32_e32 v3, v18, v14, vcc
	v_cndmask_b32_e64 v14, v22, v20, s[0:1]
	v_cndmask_b32_e32 v14, v17, v14, vcc
	v_xor_b32_e32 v15, s4, v16
	v_xor_b32_e32 v14, v14, v15
	;; [unrolled: 1-line block ×3, first 2 shown]
	v_sub_co_u32_e32 v14, vcc, v14, v15
	v_subb_co_u32_e32 v15, vcc, v3, v15, vcc
.LBB1_18:                               ;   in Loop: Header=BB1_4 Depth=1
	s_andn2_saveexec_b64 s[0:1], s[2:3]
	s_cbranch_execz .LBB1_20
; %bb.19:                               ;   in Loop: Header=BB1_4 Depth=1
	v_cvt_f32_u32_e32 v3, s72
	s_sub_i32 s2, 0, s72
	v_rcp_iflag_f32_e32 v3, v3
	v_mul_f32_e32 v3, 0x4f7ffffe, v3
	v_cvt_u32_f32_e32 v3, v3
	v_mul_lo_u32 v14, s2, v3
	v_mul_hi_u32 v14, v3, v14
	v_add_u32_e32 v3, v3, v14
	v_mul_hi_u32 v3, v6, v3
	v_mul_lo_u32 v14, v3, s72
	v_add_u32_e32 v15, 1, v3
	v_sub_u32_e32 v14, v6, v14
	v_subrev_u32_e32 v16, s72, v14
	v_cmp_le_u32_e32 vcc, s72, v14
	v_cndmask_b32_e32 v14, v14, v16, vcc
	v_cndmask_b32_e32 v3, v3, v15, vcc
	v_add_u32_e32 v15, 1, v3
	v_cmp_le_u32_e32 vcc, s72, v14
	v_cndmask_b32_e32 v14, v3, v15, vcc
	v_mov_b32_e32 v15, v2
.LBB1_20:                               ;   in Loop: Header=BB1_4 Depth=1
	s_or_b64 exec, exec, s[0:1]
	v_mul_lo_u32 v3, v11, s18
	v_mul_lo_u32 v11, v10, s19
	v_mad_u64_u32 v[16:17], s[0:1], v10, s18, 0
	v_add3_u32 v17, v17, v11, v3
	v_sub_co_u32_e32 v3, vcc, v6, v16
	v_subb_co_u32_e32 v10, vcc, v7, v17, vcc
	v_mov_b32_e32 v11, s39
	v_add_co_u32_e32 v18, vcc, s38, v3
	v_addc_co_u32_e32 v19, vcc, v10, v11, vcc
	v_cmp_lt_i64_e32 vcc, s[14:15], v[18:19]
	v_mov_b32_e32 v10, 0
	v_mov_b32_e32 v11, 0
	s_and_saveexec_b64 s[2:3], vcc
	s_cbranch_execz .LBB1_26
; %bb.21:                               ;   in Loop: Header=BB1_4 Depth=1
	v_mov_b32_e32 v3, s35
	v_add_co_u32_e32 v20, vcc, s34, v18
	v_addc_co_u32_e32 v21, vcc, v19, v3, vcc
	v_or_b32_e32 v3, s43, v21
	v_cmp_ne_u64_e32 vcc, 0, v[2:3]
                                        ; implicit-def: $vgpr10_vgpr11
	s_and_saveexec_b64 s[0:1], vcc
	s_xor_b64 s[4:5], exec, s[0:1]
	s_cbranch_execz .LBB1_23
; %bb.22:                               ;   in Loop: Header=BB1_4 Depth=1
	s_ashr_i32 s56, s43, 31
	s_add_u32 s0, s42, s56
	s_mov_b32 s57, s56
	s_addc_u32 s1, s43, s56
	s_xor_b64 s[58:59], s[0:1], s[56:57]
	v_cvt_f32_u32_e32 v3, s58
	v_cvt_f32_u32_e32 v10, s59
	s_sub_u32 s57, 0, s58
	s_subb_u32 s60, 0, s59
	v_mac_f32_e32 v3, 0x4f800000, v10
	v_rcp_f32_e32 v3, v3
	v_mul_f32_e32 v3, 0x5f7ffffc, v3
	v_mul_f32_e32 v10, 0x2f800000, v3
	v_trunc_f32_e32 v10, v10
	v_mac_f32_e32 v3, 0xcf800000, v10
	v_cvt_u32_f32_e32 v10, v10
	v_cvt_u32_f32_e32 v3, v3
	v_readfirstlane_b32 s61, v10
	v_readfirstlane_b32 s0, v3
	s_mul_i32 s1, s57, s61
	s_mul_hi_u32 s63, s57, s0
	s_mul_i32 s62, s60, s0
	s_add_i32 s1, s63, s1
	s_add_i32 s1, s1, s62
	s_mul_i32 s64, s57, s0
	s_mul_i32 s63, s0, s1
	s_mul_hi_u32 s65, s0, s64
	s_mul_hi_u32 s62, s0, s1
	s_add_u32 s63, s65, s63
	s_addc_u32 s62, 0, s62
	s_mul_hi_u32 s66, s61, s64
	s_mul_i32 s64, s61, s64
	s_add_u32 s63, s63, s64
	s_mul_hi_u32 s65, s61, s1
	s_addc_u32 s62, s62, s66
	s_addc_u32 s63, s65, 0
	s_mul_i32 s1, s61, s1
	s_add_u32 s1, s62, s1
	s_addc_u32 s62, 0, s63
	s_add_u32 s63, s0, s1
	s_cselect_b64 s[0:1], -1, 0
	s_cmp_lg_u64 s[0:1], 0
	s_addc_u32 s61, s61, s62
	s_mul_i32 s0, s57, s61
	s_mul_hi_u32 s1, s57, s63
	s_add_i32 s0, s1, s0
	s_mul_i32 s60, s60, s63
	s_add_i32 s0, s0, s60
	s_mul_i32 s57, s57, s63
	s_mul_hi_u32 s60, s61, s57
	s_mul_i32 s62, s61, s57
	s_mul_i32 s65, s63, s0
	s_mul_hi_u32 s57, s63, s57
	s_mul_hi_u32 s64, s63, s0
	s_add_u32 s57, s57, s65
	s_addc_u32 s64, 0, s64
	s_add_u32 s57, s57, s62
	s_mul_hi_u32 s1, s61, s0
	s_addc_u32 s57, s64, s60
	s_addc_u32 s1, s1, 0
	s_mul_i32 s0, s61, s0
	s_add_u32 s0, s57, s0
	s_addc_u32 s57, 0, s1
	s_add_u32 s60, s63, s0
	s_cselect_b64 s[0:1], -1, 0
	v_ashrrev_i32_e32 v3, 31, v21
	s_cmp_lg_u64 s[0:1], 0
	v_add_co_u32_e32 v10, vcc, v20, v3
	s_addc_u32 s57, s61, s57
	v_xor_b32_e32 v22, v10, v3
	v_addc_co_u32_e32 v20, vcc, v21, v3, vcc
	v_mad_u64_u32 v[10:11], s[0:1], v22, s57, 0
	v_mul_hi_u32 v21, v22, s60
	v_xor_b32_e32 v23, v20, v3
	v_xor_b32_e32 v3, s56, v3
	v_add_co_u32_e32 v24, vcc, v21, v10
	v_addc_co_u32_e32 v25, vcc, 0, v11, vcc
	v_mad_u64_u32 v[10:11], s[0:1], v23, s60, 0
	v_mad_u64_u32 v[20:21], s[0:1], v23, s57, 0
	v_add_co_u32_e32 v10, vcc, v24, v10
	v_addc_co_u32_e32 v10, vcc, v25, v11, vcc
	v_addc_co_u32_e32 v11, vcc, 0, v21, vcc
	v_add_co_u32_e32 v20, vcc, v10, v20
	v_addc_co_u32_e32 v21, vcc, 0, v11, vcc
	v_mul_lo_u32 v24, s59, v20
	v_mul_lo_u32 v25, s58, v21
	v_mad_u64_u32 v[10:11], s[0:1], s58, v20, 0
	v_add3_u32 v11, v11, v25, v24
	v_sub_u32_e32 v24, v23, v11
	v_mov_b32_e32 v25, s59
	v_sub_co_u32_e32 v10, vcc, v22, v10
	v_subb_co_u32_e64 v22, s[0:1], v24, v25, vcc
	v_subrev_co_u32_e64 v24, s[0:1], s58, v10
	v_subbrev_co_u32_e64 v22, s[0:1], 0, v22, s[0:1]
	v_cmp_le_u32_e64 s[0:1], s59, v22
	v_cndmask_b32_e64 v25, 0, -1, s[0:1]
	v_cmp_le_u32_e64 s[0:1], s58, v24
	v_cndmask_b32_e64 v24, 0, -1, s[0:1]
	v_cmp_eq_u32_e64 s[0:1], s59, v22
	v_cndmask_b32_e64 v22, v25, v24, s[0:1]
	v_add_co_u32_e64 v24, s[0:1], 2, v20
	v_subb_co_u32_e32 v11, vcc, v23, v11, vcc
	v_addc_co_u32_e64 v25, s[0:1], 0, v21, s[0:1]
	v_cmp_le_u32_e32 vcc, s59, v11
	v_add_co_u32_e64 v26, s[0:1], 1, v20
	v_cndmask_b32_e64 v23, 0, -1, vcc
	v_cmp_le_u32_e32 vcc, s58, v10
	v_addc_co_u32_e64 v27, s[0:1], 0, v21, s[0:1]
	v_cndmask_b32_e64 v10, 0, -1, vcc
	v_cmp_eq_u32_e32 vcc, s59, v11
	v_cmp_ne_u32_e64 s[0:1], 0, v22
	v_cndmask_b32_e32 v10, v23, v10, vcc
	v_cndmask_b32_e64 v22, v27, v25, s[0:1]
	v_cmp_ne_u32_e32 vcc, 0, v10
	v_cndmask_b32_e64 v11, v26, v24, s[0:1]
	v_cndmask_b32_e32 v10, v21, v22, vcc
	v_cndmask_b32_e32 v11, v20, v11, vcc
	v_xor_b32_e32 v20, v10, v3
	v_xor_b32_e32 v10, v11, v3
	v_sub_co_u32_e32 v10, vcc, v10, v3
	v_subb_co_u32_e32 v11, vcc, v20, v3, vcc
                                        ; implicit-def: $vgpr20
.LBB1_23:                               ;   in Loop: Header=BB1_4 Depth=1
	s_andn2_saveexec_b64 s[0:1], s[4:5]
	s_cbranch_execz .LBB1_25
; %bb.24:                               ;   in Loop: Header=BB1_4 Depth=1
	v_cvt_f32_u32_e32 v3, s42
	s_sub_i32 s4, 0, s42
	v_rcp_iflag_f32_e32 v3, v3
	v_mul_f32_e32 v3, 0x4f7ffffe, v3
	v_cvt_u32_f32_e32 v3, v3
	v_mul_lo_u32 v10, s4, v3
	v_mul_hi_u32 v10, v3, v10
	v_add_u32_e32 v3, v3, v10
	v_mul_hi_u32 v3, v20, v3
	v_mul_lo_u32 v10, v3, s42
	v_add_u32_e32 v11, 1, v3
	v_sub_u32_e32 v10, v20, v10
	v_subrev_u32_e32 v20, s42, v10
	v_cmp_le_u32_e32 vcc, s42, v10
	v_cndmask_b32_e32 v10, v10, v20, vcc
	v_cndmask_b32_e32 v3, v3, v11, vcc
	v_add_u32_e32 v11, 1, v3
	v_cmp_le_u32_e32 vcc, s42, v10
	v_cndmask_b32_e32 v10, v3, v11, vcc
	v_mov_b32_e32 v11, v2
.LBB1_25:                               ;   in Loop: Header=BB1_4 Depth=1
	s_or_b64 exec, exec, s[0:1]
	v_add_co_u32_e32 v10, vcc, 1, v10
	v_addc_co_u32_e32 v11, vcc, 0, v11, vcc
.LBB1_26:                               ;   in Loop: Header=BB1_4 Depth=1
	s_or_b64 exec, exec, s[2:3]
	v_or_b32_e32 v3, s43, v19
	v_cmp_ne_u64_e32 vcc, 0, v[2:3]
                                        ; implicit-def: $vgpr22_vgpr23
	s_and_saveexec_b64 s[0:1], vcc
	s_xor_b64 s[2:3], exec, s[0:1]
	s_cbranch_execz .LBB1_28
; %bb.27:                               ;   in Loop: Header=BB1_4 Depth=1
	s_ashr_i32 s4, s43, 31
	s_add_u32 s0, s42, s4
	s_mov_b32 s5, s4
	s_addc_u32 s1, s43, s4
	s_xor_b64 s[56:57], s[0:1], s[4:5]
	v_cvt_f32_u32_e32 v3, s56
	v_cvt_f32_u32_e32 v20, s57
	s_sub_u32 s5, 0, s56
	s_subb_u32 s58, 0, s57
	v_mac_f32_e32 v3, 0x4f800000, v20
	v_rcp_f32_e32 v3, v3
	v_mul_f32_e32 v3, 0x5f7ffffc, v3
	v_mul_f32_e32 v20, 0x2f800000, v3
	v_trunc_f32_e32 v20, v20
	v_mac_f32_e32 v3, 0xcf800000, v20
	v_cvt_u32_f32_e32 v20, v20
	v_cvt_u32_f32_e32 v3, v3
	v_readfirstlane_b32 s59, v20
	v_readfirstlane_b32 s0, v3
	s_mul_i32 s1, s5, s59
	s_mul_hi_u32 s61, s5, s0
	s_mul_i32 s60, s58, s0
	s_add_i32 s1, s61, s1
	s_add_i32 s1, s1, s60
	s_mul_i32 s62, s5, s0
	s_mul_i32 s61, s0, s1
	s_mul_hi_u32 s63, s0, s62
	s_mul_hi_u32 s60, s0, s1
	s_add_u32 s61, s63, s61
	s_addc_u32 s60, 0, s60
	s_mul_hi_u32 s64, s59, s62
	s_mul_i32 s62, s59, s62
	s_add_u32 s61, s61, s62
	s_mul_hi_u32 s63, s59, s1
	s_addc_u32 s60, s60, s64
	s_addc_u32 s61, s63, 0
	s_mul_i32 s1, s59, s1
	s_add_u32 s1, s60, s1
	s_addc_u32 s60, 0, s61
	s_add_u32 s61, s0, s1
	s_cselect_b64 s[0:1], -1, 0
	s_cmp_lg_u64 s[0:1], 0
	s_addc_u32 s59, s59, s60
	s_mul_i32 s0, s5, s59
	s_mul_hi_u32 s1, s5, s61
	s_add_i32 s0, s1, s0
	s_mul_i32 s58, s58, s61
	s_add_i32 s0, s0, s58
	s_mul_i32 s5, s5, s61
	s_mul_hi_u32 s58, s59, s5
	s_mul_i32 s60, s59, s5
	s_mul_i32 s63, s61, s0
	s_mul_hi_u32 s5, s61, s5
	s_mul_hi_u32 s62, s61, s0
	s_add_u32 s5, s5, s63
	s_addc_u32 s62, 0, s62
	s_add_u32 s5, s5, s60
	s_mul_hi_u32 s1, s59, s0
	s_addc_u32 s5, s62, s58
	s_addc_u32 s1, s1, 0
	s_mul_i32 s0, s59, s0
	s_add_u32 s0, s5, s0
	s_addc_u32 s5, 0, s1
	s_add_u32 s58, s61, s0
	s_cselect_b64 s[0:1], -1, 0
	v_ashrrev_i32_e32 v3, 31, v19
	s_cmp_lg_u64 s[0:1], 0
	v_add_co_u32_e32 v18, vcc, v18, v3
	s_addc_u32 s5, s59, s5
	v_xor_b32_e32 v22, v18, v3
	v_addc_co_u32_e32 v20, vcc, v19, v3, vcc
	v_mad_u64_u32 v[18:19], s[0:1], v22, s5, 0
	v_mul_hi_u32 v21, v22, s58
	v_xor_b32_e32 v23, v20, v3
	v_xor_b32_e32 v3, s4, v3
	v_add_co_u32_e32 v24, vcc, v21, v18
	v_addc_co_u32_e32 v25, vcc, 0, v19, vcc
	v_mad_u64_u32 v[18:19], s[0:1], v23, s58, 0
	v_mad_u64_u32 v[20:21], s[0:1], v23, s5, 0
	v_add_co_u32_e32 v18, vcc, v24, v18
	v_addc_co_u32_e32 v18, vcc, v25, v19, vcc
	v_addc_co_u32_e32 v19, vcc, 0, v21, vcc
	v_add_co_u32_e32 v20, vcc, v18, v20
	v_addc_co_u32_e32 v21, vcc, 0, v19, vcc
	v_mul_lo_u32 v24, s57, v20
	v_mul_lo_u32 v25, s56, v21
	v_mad_u64_u32 v[18:19], s[0:1], s56, v20, 0
	v_add3_u32 v19, v19, v25, v24
	v_sub_u32_e32 v24, v23, v19
	v_mov_b32_e32 v25, s57
	v_sub_co_u32_e32 v18, vcc, v22, v18
	v_subb_co_u32_e64 v22, s[0:1], v24, v25, vcc
	v_subrev_co_u32_e64 v24, s[0:1], s56, v18
	v_subbrev_co_u32_e64 v22, s[0:1], 0, v22, s[0:1]
	v_cmp_le_u32_e64 s[0:1], s57, v22
	v_cndmask_b32_e64 v25, 0, -1, s[0:1]
	v_cmp_le_u32_e64 s[0:1], s56, v24
	v_cndmask_b32_e64 v24, 0, -1, s[0:1]
	v_cmp_eq_u32_e64 s[0:1], s57, v22
	v_cndmask_b32_e64 v22, v25, v24, s[0:1]
	v_add_co_u32_e64 v24, s[0:1], 2, v20
	v_subb_co_u32_e32 v19, vcc, v23, v19, vcc
	v_addc_co_u32_e64 v25, s[0:1], 0, v21, s[0:1]
	v_cmp_le_u32_e32 vcc, s57, v19
	v_add_co_u32_e64 v26, s[0:1], 1, v20
	v_cndmask_b32_e64 v23, 0, -1, vcc
	v_cmp_le_u32_e32 vcc, s56, v18
	v_addc_co_u32_e64 v27, s[0:1], 0, v21, s[0:1]
	v_cndmask_b32_e64 v18, 0, -1, vcc
	v_cmp_eq_u32_e32 vcc, s57, v19
	v_cmp_ne_u32_e64 s[0:1], 0, v22
	v_cndmask_b32_e32 v18, v23, v18, vcc
	v_cmp_ne_u32_e32 vcc, 0, v18
	v_cndmask_b32_e64 v19, v26, v24, s[0:1]
	v_cndmask_b32_e64 v22, v27, v25, s[0:1]
	v_cndmask_b32_e32 v19, v20, v19, vcc
	v_cndmask_b32_e32 v18, v21, v22, vcc
	v_xor_b32_e32 v19, v19, v3
	v_xor_b32_e32 v18, v18, v3
	v_sub_co_u32_e32 v22, vcc, v19, v3
	v_subb_co_u32_e32 v23, vcc, v18, v3, vcc
                                        ; implicit-def: $vgpr18
.LBB1_28:                               ;   in Loop: Header=BB1_4 Depth=1
	s_andn2_saveexec_b64 s[0:1], s[2:3]
	s_cbranch_execz .LBB1_30
; %bb.29:                               ;   in Loop: Header=BB1_4 Depth=1
	v_cvt_f32_u32_e32 v3, s42
	s_sub_i32 s2, 0, s42
	v_mov_b32_e32 v23, v2
	v_rcp_iflag_f32_e32 v3, v3
	v_mul_f32_e32 v3, 0x4f7ffffe, v3
	v_cvt_u32_f32_e32 v3, v3
	v_mul_lo_u32 v19, s2, v3
	v_mul_hi_u32 v19, v3, v19
	v_add_u32_e32 v3, v3, v19
	v_mul_hi_u32 v3, v18, v3
	v_mul_lo_u32 v19, v3, s42
	v_add_u32_e32 v20, 1, v3
	v_sub_u32_e32 v18, v18, v19
	v_subrev_u32_e32 v19, s42, v18
	v_cmp_le_u32_e32 vcc, s42, v18
	v_cndmask_b32_e32 v18, v18, v19, vcc
	v_cndmask_b32_e32 v3, v3, v20, vcc
	v_add_u32_e32 v19, 1, v3
	v_cmp_le_u32_e32 vcc, s42, v18
	v_cndmask_b32_e32 v22, v3, v19, vcc
.LBB1_30:                               ;   in Loop: Header=BB1_4 Depth=1
	s_or_b64 exec, exec, s[0:1]
	v_mov_b32_e32 v3, s37
	v_add_co_u32_e32 v12, vcc, s36, v12
	v_addc_co_u32_e32 v13, vcc, v13, v3, vcc
	v_cmp_lt_i64_e32 vcc, s[28:29], v[12:13]
	v_mov_b32_e32 v18, 0
	v_mov_b32_e32 v19, 0
	s_and_saveexec_b64 s[2:3], vcc
	s_cbranch_execz .LBB1_36
; %bb.31:                               ;   in Loop: Header=BB1_4 Depth=1
	v_mov_b32_e32 v3, s31
	v_add_co_u32_e32 v20, vcc, s30, v12
	v_addc_co_u32_e32 v21, vcc, v13, v3, vcc
	v_or_b32_e32 v3, s41, v21
	v_cmp_ne_u64_e32 vcc, 0, v[2:3]
                                        ; implicit-def: $vgpr18_vgpr19
	s_and_saveexec_b64 s[0:1], vcc
	s_xor_b64 s[4:5], exec, s[0:1]
	s_cbranch_execz .LBB1_33
; %bb.32:                               ;   in Loop: Header=BB1_4 Depth=1
	s_ashr_i32 s56, s41, 31
	s_add_u32 s0, s40, s56
	s_mov_b32 s57, s56
	s_addc_u32 s1, s41, s56
	s_xor_b64 s[58:59], s[0:1], s[56:57]
	v_cvt_f32_u32_e32 v3, s58
	v_cvt_f32_u32_e32 v18, s59
	s_sub_u32 s57, 0, s58
	s_subb_u32 s60, 0, s59
	v_mac_f32_e32 v3, 0x4f800000, v18
	v_rcp_f32_e32 v3, v3
	v_mul_f32_e32 v3, 0x5f7ffffc, v3
	v_mul_f32_e32 v18, 0x2f800000, v3
	v_trunc_f32_e32 v18, v18
	v_mac_f32_e32 v3, 0xcf800000, v18
	v_cvt_u32_f32_e32 v18, v18
	v_cvt_u32_f32_e32 v3, v3
	v_readfirstlane_b32 s61, v18
	v_readfirstlane_b32 s0, v3
	s_mul_i32 s1, s57, s61
	s_mul_hi_u32 s63, s57, s0
	s_mul_i32 s62, s60, s0
	s_add_i32 s1, s63, s1
	s_add_i32 s1, s1, s62
	s_mul_i32 s64, s57, s0
	s_mul_i32 s63, s0, s1
	s_mul_hi_u32 s65, s0, s64
	s_mul_hi_u32 s62, s0, s1
	s_add_u32 s63, s65, s63
	s_addc_u32 s62, 0, s62
	s_mul_hi_u32 s66, s61, s64
	s_mul_i32 s64, s61, s64
	s_add_u32 s63, s63, s64
	s_mul_hi_u32 s65, s61, s1
	s_addc_u32 s62, s62, s66
	s_addc_u32 s63, s65, 0
	s_mul_i32 s1, s61, s1
	s_add_u32 s1, s62, s1
	s_addc_u32 s62, 0, s63
	s_add_u32 s63, s0, s1
	s_cselect_b64 s[0:1], -1, 0
	s_cmp_lg_u64 s[0:1], 0
	s_addc_u32 s61, s61, s62
	s_mul_i32 s0, s57, s61
	s_mul_hi_u32 s1, s57, s63
	s_add_i32 s0, s1, s0
	s_mul_i32 s60, s60, s63
	s_add_i32 s0, s0, s60
	s_mul_i32 s57, s57, s63
	s_mul_hi_u32 s60, s61, s57
	s_mul_i32 s62, s61, s57
	s_mul_i32 s65, s63, s0
	s_mul_hi_u32 s57, s63, s57
	s_mul_hi_u32 s64, s63, s0
	s_add_u32 s57, s57, s65
	s_addc_u32 s64, 0, s64
	s_add_u32 s57, s57, s62
	s_mul_hi_u32 s1, s61, s0
	s_addc_u32 s57, s64, s60
	s_addc_u32 s1, s1, 0
	s_mul_i32 s0, s61, s0
	s_add_u32 s0, s57, s0
	s_addc_u32 s57, 0, s1
	s_add_u32 s60, s63, s0
	s_cselect_b64 s[0:1], -1, 0
	v_ashrrev_i32_e32 v3, 31, v21
	s_cmp_lg_u64 s[0:1], 0
	v_add_co_u32_e32 v18, vcc, v20, v3
	s_addc_u32 s57, s61, s57
	v_xor_b32_e32 v24, v18, v3
	v_addc_co_u32_e32 v20, vcc, v21, v3, vcc
	v_mad_u64_u32 v[18:19], s[0:1], v24, s57, 0
	v_mul_hi_u32 v21, v24, s60
	v_xor_b32_e32 v25, v20, v3
	v_xor_b32_e32 v3, s56, v3
	v_add_co_u32_e32 v26, vcc, v21, v18
	v_addc_co_u32_e32 v27, vcc, 0, v19, vcc
	v_mad_u64_u32 v[18:19], s[0:1], v25, s60, 0
	v_mad_u64_u32 v[20:21], s[0:1], v25, s57, 0
	v_add_co_u32_e32 v18, vcc, v26, v18
	v_addc_co_u32_e32 v18, vcc, v27, v19, vcc
	v_addc_co_u32_e32 v19, vcc, 0, v21, vcc
	v_add_co_u32_e32 v20, vcc, v18, v20
	v_addc_co_u32_e32 v21, vcc, 0, v19, vcc
	v_mul_lo_u32 v26, s59, v20
	v_mul_lo_u32 v27, s58, v21
	v_mad_u64_u32 v[18:19], s[0:1], s58, v20, 0
	v_add3_u32 v19, v19, v27, v26
	v_sub_u32_e32 v26, v25, v19
	v_mov_b32_e32 v27, s59
	v_sub_co_u32_e32 v18, vcc, v24, v18
	v_subb_co_u32_e64 v24, s[0:1], v26, v27, vcc
	v_subrev_co_u32_e64 v26, s[0:1], s58, v18
	v_subbrev_co_u32_e64 v24, s[0:1], 0, v24, s[0:1]
	v_cmp_le_u32_e64 s[0:1], s59, v24
	v_cndmask_b32_e64 v27, 0, -1, s[0:1]
	v_cmp_le_u32_e64 s[0:1], s58, v26
	v_cndmask_b32_e64 v26, 0, -1, s[0:1]
	v_cmp_eq_u32_e64 s[0:1], s59, v24
	v_cndmask_b32_e64 v24, v27, v26, s[0:1]
	v_add_co_u32_e64 v26, s[0:1], 2, v20
	v_subb_co_u32_e32 v19, vcc, v25, v19, vcc
	v_addc_co_u32_e64 v27, s[0:1], 0, v21, s[0:1]
	v_cmp_le_u32_e32 vcc, s59, v19
	v_add_co_u32_e64 v28, s[0:1], 1, v20
	v_cndmask_b32_e64 v25, 0, -1, vcc
	v_cmp_le_u32_e32 vcc, s58, v18
	v_addc_co_u32_e64 v29, s[0:1], 0, v21, s[0:1]
	v_cndmask_b32_e64 v18, 0, -1, vcc
	v_cmp_eq_u32_e32 vcc, s59, v19
	v_cmp_ne_u32_e64 s[0:1], 0, v24
	v_cndmask_b32_e32 v18, v25, v18, vcc
	v_cndmask_b32_e64 v24, v29, v27, s[0:1]
	v_cmp_ne_u32_e32 vcc, 0, v18
	v_cndmask_b32_e64 v19, v28, v26, s[0:1]
	v_cndmask_b32_e32 v18, v21, v24, vcc
	v_cndmask_b32_e32 v19, v20, v19, vcc
	v_xor_b32_e32 v20, v18, v3
	v_xor_b32_e32 v18, v19, v3
	v_sub_co_u32_e32 v18, vcc, v18, v3
	v_subb_co_u32_e32 v19, vcc, v20, v3, vcc
                                        ; implicit-def: $vgpr20
.LBB1_33:                               ;   in Loop: Header=BB1_4 Depth=1
	s_andn2_saveexec_b64 s[0:1], s[4:5]
	s_cbranch_execz .LBB1_35
; %bb.34:                               ;   in Loop: Header=BB1_4 Depth=1
	v_cvt_f32_u32_e32 v3, s40
	s_sub_i32 s4, 0, s40
	v_rcp_iflag_f32_e32 v3, v3
	v_mul_f32_e32 v3, 0x4f7ffffe, v3
	v_cvt_u32_f32_e32 v3, v3
	v_mul_lo_u32 v18, s4, v3
	v_mul_hi_u32 v18, v3, v18
	v_add_u32_e32 v3, v3, v18
	v_mul_hi_u32 v3, v20, v3
	v_mul_lo_u32 v18, v3, s40
	v_add_u32_e32 v19, 1, v3
	v_sub_u32_e32 v18, v20, v18
	v_subrev_u32_e32 v20, s40, v18
	v_cmp_le_u32_e32 vcc, s40, v18
	v_cndmask_b32_e32 v18, v18, v20, vcc
	v_cndmask_b32_e32 v3, v3, v19, vcc
	v_add_u32_e32 v19, 1, v3
	v_cmp_le_u32_e32 vcc, s40, v18
	v_cndmask_b32_e32 v18, v3, v19, vcc
	v_mov_b32_e32 v19, v2
.LBB1_35:                               ;   in Loop: Header=BB1_4 Depth=1
	s_or_b64 exec, exec, s[0:1]
	v_add_co_u32_e32 v18, vcc, 1, v18
	v_addc_co_u32_e32 v19, vcc, 0, v19, vcc
.LBB1_36:                               ;   in Loop: Header=BB1_4 Depth=1
	s_or_b64 exec, exec, s[2:3]
	v_or_b32_e32 v3, s41, v13
	v_cmp_ne_u64_e32 vcc, 0, v[2:3]
                                        ; implicit-def: $vgpr20_vgpr21
	s_and_saveexec_b64 s[0:1], vcc
	s_xor_b64 s[2:3], exec, s[0:1]
	s_cbranch_execz .LBB1_38
; %bb.37:                               ;   in Loop: Header=BB1_4 Depth=1
	s_ashr_i32 s4, s41, 31
	s_add_u32 s0, s40, s4
	s_mov_b32 s5, s4
	s_addc_u32 s1, s41, s4
	s_xor_b64 s[56:57], s[0:1], s[4:5]
	v_cvt_f32_u32_e32 v3, s56
	v_cvt_f32_u32_e32 v20, s57
	s_sub_u32 s5, 0, s56
	s_subb_u32 s58, 0, s57
	v_mac_f32_e32 v3, 0x4f800000, v20
	v_rcp_f32_e32 v3, v3
	v_mul_f32_e32 v3, 0x5f7ffffc, v3
	v_mul_f32_e32 v20, 0x2f800000, v3
	v_trunc_f32_e32 v20, v20
	v_mac_f32_e32 v3, 0xcf800000, v20
	v_cvt_u32_f32_e32 v20, v20
	v_cvt_u32_f32_e32 v3, v3
	v_readfirstlane_b32 s59, v20
	v_readfirstlane_b32 s0, v3
	s_mul_i32 s1, s5, s59
	s_mul_hi_u32 s61, s5, s0
	s_mul_i32 s60, s58, s0
	s_add_i32 s1, s61, s1
	s_add_i32 s1, s1, s60
	s_mul_i32 s62, s5, s0
	s_mul_i32 s61, s0, s1
	s_mul_hi_u32 s63, s0, s62
	s_mul_hi_u32 s60, s0, s1
	s_add_u32 s61, s63, s61
	s_addc_u32 s60, 0, s60
	s_mul_hi_u32 s64, s59, s62
	s_mul_i32 s62, s59, s62
	s_add_u32 s61, s61, s62
	s_mul_hi_u32 s63, s59, s1
	s_addc_u32 s60, s60, s64
	s_addc_u32 s61, s63, 0
	s_mul_i32 s1, s59, s1
	s_add_u32 s1, s60, s1
	s_addc_u32 s60, 0, s61
	s_add_u32 s61, s0, s1
	s_cselect_b64 s[0:1], -1, 0
	s_cmp_lg_u64 s[0:1], 0
	s_addc_u32 s59, s59, s60
	s_mul_i32 s0, s5, s59
	s_mul_hi_u32 s1, s5, s61
	s_add_i32 s0, s1, s0
	s_mul_i32 s58, s58, s61
	s_add_i32 s0, s0, s58
	s_mul_i32 s5, s5, s61
	s_mul_hi_u32 s58, s59, s5
	s_mul_i32 s60, s59, s5
	s_mul_i32 s63, s61, s0
	s_mul_hi_u32 s5, s61, s5
	s_mul_hi_u32 s62, s61, s0
	s_add_u32 s5, s5, s63
	s_addc_u32 s62, 0, s62
	s_add_u32 s5, s5, s60
	s_mul_hi_u32 s1, s59, s0
	s_addc_u32 s5, s62, s58
	s_addc_u32 s1, s1, 0
	s_mul_i32 s0, s59, s0
	s_add_u32 s0, s5, s0
	s_addc_u32 s5, 0, s1
	s_add_u32 s58, s61, s0
	s_cselect_b64 s[0:1], -1, 0
	v_ashrrev_i32_e32 v3, 31, v13
	s_cmp_lg_u64 s[0:1], 0
	v_add_co_u32_e32 v20, vcc, v12, v3
	s_addc_u32 s5, s59, s5
	v_xor_b32_e32 v26, v20, v3
	v_mad_u64_u32 v[20:21], s[0:1], v26, s5, 0
	v_mul_hi_u32 v25, v26, s58
	v_addc_co_u32_e32 v24, vcc, v13, v3, vcc
	v_xor_b32_e32 v27, v24, v3
	v_add_co_u32_e32 v28, vcc, v25, v20
	v_addc_co_u32_e32 v29, vcc, 0, v21, vcc
	v_mad_u64_u32 v[20:21], s[0:1], v27, s58, 0
	v_mad_u64_u32 v[24:25], s[0:1], v27, s5, 0
	v_add_co_u32_e32 v20, vcc, v28, v20
	v_addc_co_u32_e32 v20, vcc, v29, v21, vcc
	v_addc_co_u32_e32 v21, vcc, 0, v25, vcc
	v_add_co_u32_e32 v24, vcc, v20, v24
	v_addc_co_u32_e32 v25, vcc, 0, v21, vcc
	v_mul_lo_u32 v28, s57, v24
	v_mul_lo_u32 v29, s56, v25
	v_mad_u64_u32 v[20:21], s[0:1], s56, v24, 0
	v_xor_b32_e32 v3, s4, v3
	v_add3_u32 v21, v21, v29, v28
	v_sub_u32_e32 v28, v27, v21
	v_mov_b32_e32 v29, s57
	v_sub_co_u32_e32 v20, vcc, v26, v20
	v_subb_co_u32_e64 v26, s[0:1], v28, v29, vcc
	v_subrev_co_u32_e64 v28, s[0:1], s56, v20
	v_subbrev_co_u32_e64 v26, s[0:1], 0, v26, s[0:1]
	v_cmp_le_u32_e64 s[0:1], s57, v26
	v_cndmask_b32_e64 v29, 0, -1, s[0:1]
	v_cmp_le_u32_e64 s[0:1], s56, v28
	v_cndmask_b32_e64 v28, 0, -1, s[0:1]
	v_cmp_eq_u32_e64 s[0:1], s57, v26
	v_cndmask_b32_e64 v26, v29, v28, s[0:1]
	v_add_co_u32_e64 v28, s[0:1], 2, v24
	v_subb_co_u32_e32 v21, vcc, v27, v21, vcc
	v_addc_co_u32_e64 v29, s[0:1], 0, v25, s[0:1]
	v_cmp_le_u32_e32 vcc, s57, v21
	v_add_co_u32_e64 v30, s[0:1], 1, v24
	v_cndmask_b32_e64 v27, 0, -1, vcc
	v_cmp_le_u32_e32 vcc, s56, v20
	v_addc_co_u32_e64 v31, s[0:1], 0, v25, s[0:1]
	v_cndmask_b32_e64 v20, 0, -1, vcc
	v_cmp_eq_u32_e32 vcc, s57, v21
	v_cmp_ne_u32_e64 s[0:1], 0, v26
	v_cndmask_b32_e32 v20, v27, v20, vcc
	v_cndmask_b32_e64 v26, v31, v29, s[0:1]
	v_cmp_ne_u32_e32 vcc, 0, v20
	v_cndmask_b32_e64 v21, v30, v28, s[0:1]
	v_cndmask_b32_e32 v20, v25, v26, vcc
	v_cndmask_b32_e32 v21, v24, v21, vcc
	v_xor_b32_e32 v24, v20, v3
	v_xor_b32_e32 v20, v21, v3
	v_sub_co_u32_e32 v20, vcc, v20, v3
	v_subb_co_u32_e32 v21, vcc, v24, v3, vcc
.LBB1_38:                               ;   in Loop: Header=BB1_4 Depth=1
	s_andn2_saveexec_b64 s[0:1], s[2:3]
	s_cbranch_execz .LBB1_40
; %bb.39:                               ;   in Loop: Header=BB1_4 Depth=1
	v_cvt_f32_u32_e32 v3, s40
	s_sub_i32 s2, 0, s40
	v_rcp_iflag_f32_e32 v3, v3
	v_mul_f32_e32 v3, 0x4f7ffffe, v3
	v_cvt_u32_f32_e32 v3, v3
	v_mul_lo_u32 v20, s2, v3
	v_mul_hi_u32 v20, v3, v20
	v_add_u32_e32 v3, v3, v20
	v_mul_hi_u32 v3, v12, v3
	v_mul_lo_u32 v20, v3, s40
	v_add_u32_e32 v21, 1, v3
	v_sub_u32_e32 v20, v12, v20
	v_subrev_u32_e32 v24, s40, v20
	v_cmp_le_u32_e32 vcc, s40, v20
	v_cndmask_b32_e32 v20, v20, v24, vcc
	v_cndmask_b32_e32 v3, v3, v21, vcc
	v_add_u32_e32 v21, 1, v3
	v_cmp_le_u32_e32 vcc, s40, v20
	v_cndmask_b32_e32 v20, v3, v21, vcc
	v_mov_b32_e32 v21, v2
.LBB1_40:                               ;   in Loop: Header=BB1_4 Depth=1
	s_or_b64 exec, exec, s[0:1]
	v_add_co_u32_e32 v20, vcc, 1, v20
	v_addc_co_u32_e32 v21, vcc, 0, v21, vcc
	v_cmp_gt_i64_e32 vcc, s[48:49], v[20:21]
	v_mov_b32_e32 v3, s49
	v_cndmask_b32_e32 v21, v3, v21, vcc
	v_mov_b32_e32 v3, s48
	v_cndmask_b32_e32 v20, v3, v20, vcc
	v_cmp_lt_i64_e32 vcc, v[18:19], v[20:21]
	v_mov_b32_e32 v34, 0
	s_and_saveexec_b64 s[56:57], vcc
	s_cbranch_execz .LBB1_3
; %bb.41:                               ;   in Loop: Header=BB1_4 Depth=1
	v_lshlrev_b64 v[24:25], 2, v[10:11]
	v_add_co_u32_e32 v22, vcc, 1, v22
	v_addc_co_u32_e32 v23, vcc, 0, v23, vcc
	v_mul_lo_u32 v26, v15, s20
	v_mul_lo_u32 v27, v14, s21
	v_mad_u64_u32 v[14:15], s[0:1], v14, s20, 0
	v_mul_lo_u32 v28, s12, v5
	v_mul_lo_u32 v29, s13, v4
	v_mad_u64_u32 v[24:25], s[0:1], s12, v4, v[24:25]
	v_cmp_gt_i64_e32 vcc, s[50:51], v[22:23]
	v_mov_b32_e32 v3, s51
	v_cndmask_b32_e32 v23, v3, v23, vcc
	v_mov_b32_e32 v3, s50
	v_cndmask_b32_e32 v22, v3, v22, vcc
	v_add3_u32 v15, v15, v27, v26
	v_add3_u32 v3, v29, v25, v28
	v_mov_b32_e32 v25, s11
	v_add_co_u32_e32 v24, vcc, s10, v24
	v_mul_lo_u32 v28, s43, v10
	v_mul_lo_u32 v29, s42, v11
	v_mad_u64_u32 v[26:27], s[2:3], s42, v10, 0
	v_addc_co_u32_e32 v25, vcc, v25, v3, vcc
	v_mov_b32_e32 v3, s39
	v_add_co_u32_e32 v30, vcc, s38, v0
	v_addc_co_u32_e32 v3, vcc, v3, v1, vcc
	v_add3_u32 v27, v27, v29, v28
	v_sub_co_u32_e32 v26, vcc, v30, v26
	v_subb_co_u32_e32 v3, vcc, v3, v27, vcc
	v_sub_co_u32_e32 v16, vcc, v26, v16
	v_subb_co_u32_e32 v3, vcc, v3, v17, vcc
	v_cmp_lt_i64_e64 s[0:1], v[10:11], v[22:23]
	v_sub_co_u32_e32 v8, vcc, v16, v8
	v_subb_co_u32_e32 v9, vcc, v3, v9, vcc
	v_mov_b32_e32 v34, 0
	s_mov_b64 s[58:59], 0
	s_branch .LBB1_44
.LBB1_42:                               ;   in Loop: Header=BB1_44 Depth=2
	s_or_b64 exec, exec, s[62:63]
.LBB1_43:                               ;   in Loop: Header=BB1_44 Depth=2
	s_or_b64 exec, exec, s[60:61]
	v_add_co_u32_e32 v18, vcc, 1, v18
	v_addc_co_u32_e32 v19, vcc, 0, v19, vcc
	v_cmp_ge_i64_e32 vcc, v[18:19], v[20:21]
	s_or_b64 s[58:59], vcc, s[58:59]
	s_andn2_b64 exec, exec, s[58:59]
	s_cbranch_execz .LBB1_2
.LBB1_44:                               ;   Parent Loop BB1_4 Depth=1
                                        ; =>  This Loop Header: Depth=2
                                        ;       Child Loop BB1_52 Depth 3
	s_and_saveexec_b64 s[60:61], s[0:1]
	s_cbranch_execz .LBB1_43
; %bb.45:                               ;   in Loop: Header=BB1_44 Depth=2
	v_mul_lo_u32 v3, v19, s40
	v_mul_lo_u32 v26, v18, s41
	v_mad_u64_u32 v[16:17], s[2:3], v18, s40, 0
	v_add3_u32 v3, v17, v26, v3
	v_sub_co_u32_e32 v26, vcc, v12, v16
	v_subb_co_u32_e32 v27, vcc, v13, v3, vcc
	v_or_b32_e32 v3, s45, v27
	v_cmp_ne_u64_e32 vcc, 0, v[2:3]
                                        ; implicit-def: $vgpr16_vgpr17
	s_and_saveexec_b64 s[2:3], vcc
	s_xor_b64 s[4:5], exec, s[2:3]
	s_cbranch_execz .LBB1_47
; %bb.46:                               ;   in Loop: Header=BB1_44 Depth=2
	s_ashr_i32 s62, s45, 31
	s_add_u32 s2, s44, s62
	s_mov_b32 s63, s62
	s_addc_u32 s3, s45, s62
	s_xor_b64 s[64:65], s[2:3], s[62:63]
	v_cvt_f32_u32_e32 v3, s64
	v_cvt_f32_u32_e32 v16, s65
	s_sub_u32 s63, 0, s64
	s_subb_u32 s66, 0, s65
	v_mac_f32_e32 v3, 0x4f800000, v16
	v_rcp_f32_e32 v3, v3
	v_mul_f32_e32 v3, 0x5f7ffffc, v3
	v_mul_f32_e32 v16, 0x2f800000, v3
	v_trunc_f32_e32 v16, v16
	v_mac_f32_e32 v3, 0xcf800000, v16
	v_cvt_u32_f32_e32 v16, v16
	v_cvt_u32_f32_e32 v3, v3
	v_readfirstlane_b32 s67, v16
	v_readfirstlane_b32 s2, v3
	s_mul_i32 s3, s63, s67
	s_mul_hi_u32 s69, s63, s2
	s_mul_i32 s68, s66, s2
	s_add_i32 s3, s69, s3
	s_add_i32 s3, s3, s68
	s_mul_i32 s70, s63, s2
	s_mul_i32 s69, s2, s3
	s_mul_hi_u32 s71, s2, s70
	s_mul_hi_u32 s68, s2, s3
	s_add_u32 s69, s71, s69
	s_addc_u32 s68, 0, s68
	s_mul_hi_u32 s74, s67, s70
	s_mul_i32 s70, s67, s70
	s_add_u32 s69, s69, s70
	s_mul_hi_u32 s71, s67, s3
	s_addc_u32 s68, s68, s74
	s_addc_u32 s69, s71, 0
	s_mul_i32 s3, s67, s3
	s_add_u32 s3, s68, s3
	s_addc_u32 s68, 0, s69
	s_add_u32 s69, s2, s3
	s_cselect_b64 s[2:3], -1, 0
	s_cmp_lg_u64 s[2:3], 0
	s_addc_u32 s67, s67, s68
	s_mul_i32 s2, s63, s67
	s_mul_hi_u32 s3, s63, s69
	s_add_i32 s2, s3, s2
	s_mul_i32 s66, s66, s69
	s_add_i32 s2, s2, s66
	s_mul_i32 s63, s63, s69
	s_mul_hi_u32 s66, s67, s63
	s_mul_i32 s68, s67, s63
	s_mul_i32 s71, s69, s2
	s_mul_hi_u32 s63, s69, s63
	s_mul_hi_u32 s70, s69, s2
	s_add_u32 s63, s63, s71
	s_addc_u32 s70, 0, s70
	s_add_u32 s63, s63, s68
	s_mul_hi_u32 s3, s67, s2
	s_addc_u32 s63, s70, s66
	s_addc_u32 s3, s3, 0
	s_mul_i32 s2, s67, s2
	s_add_u32 s2, s63, s2
	s_addc_u32 s63, 0, s3
	s_add_u32 s66, s69, s2
	s_cselect_b64 s[2:3], -1, 0
	v_ashrrev_i32_e32 v3, 31, v27
	s_cmp_lg_u64 s[2:3], 0
	v_add_co_u32_e32 v16, vcc, v26, v3
	s_addc_u32 s63, s67, s63
	v_xor_b32_e32 v30, v16, v3
	v_mad_u64_u32 v[16:17], s[2:3], v30, s63, 0
	v_mul_hi_u32 v29, v30, s66
	v_addc_co_u32_e32 v28, vcc, v27, v3, vcc
	v_xor_b32_e32 v31, v28, v3
	v_add_co_u32_e32 v32, vcc, v29, v16
	v_addc_co_u32_e32 v33, vcc, 0, v17, vcc
	v_mad_u64_u32 v[16:17], s[2:3], v31, s66, 0
	v_mad_u64_u32 v[28:29], s[2:3], v31, s63, 0
	v_add_co_u32_e32 v16, vcc, v32, v16
	v_addc_co_u32_e32 v16, vcc, v33, v17, vcc
	v_addc_co_u32_e32 v17, vcc, 0, v29, vcc
	v_add_co_u32_e32 v28, vcc, v16, v28
	v_addc_co_u32_e32 v29, vcc, 0, v17, vcc
	v_mul_lo_u32 v32, s65, v28
	v_mul_lo_u32 v33, s64, v29
	v_mad_u64_u32 v[16:17], s[2:3], s64, v28, 0
	v_xor_b32_e32 v3, s62, v3
	v_add3_u32 v17, v17, v33, v32
	v_sub_u32_e32 v32, v31, v17
	v_mov_b32_e32 v33, s65
	v_sub_co_u32_e32 v16, vcc, v30, v16
	v_subb_co_u32_e64 v30, s[2:3], v32, v33, vcc
	v_subrev_co_u32_e64 v32, s[2:3], s64, v16
	v_subbrev_co_u32_e64 v30, s[2:3], 0, v30, s[2:3]
	v_cmp_le_u32_e64 s[2:3], s65, v30
	v_cndmask_b32_e64 v33, 0, -1, s[2:3]
	v_cmp_le_u32_e64 s[2:3], s64, v32
	v_cndmask_b32_e64 v32, 0, -1, s[2:3]
	v_cmp_eq_u32_e64 s[2:3], s65, v30
	v_cndmask_b32_e64 v30, v33, v32, s[2:3]
	v_add_co_u32_e64 v32, s[2:3], 2, v28
	v_subb_co_u32_e32 v17, vcc, v31, v17, vcc
	v_addc_co_u32_e64 v33, s[2:3], 0, v29, s[2:3]
	v_cmp_le_u32_e32 vcc, s65, v17
	v_add_co_u32_e64 v35, s[2:3], 1, v28
	v_cndmask_b32_e64 v31, 0, -1, vcc
	v_cmp_le_u32_e32 vcc, s64, v16
	v_addc_co_u32_e64 v36, s[2:3], 0, v29, s[2:3]
	v_cndmask_b32_e64 v16, 0, -1, vcc
	v_cmp_eq_u32_e32 vcc, s65, v17
	v_cmp_ne_u32_e64 s[2:3], 0, v30
	v_cndmask_b32_e32 v16, v31, v16, vcc
	v_cndmask_b32_e64 v30, v36, v33, s[2:3]
	v_cmp_ne_u32_e32 vcc, 0, v16
	v_cndmask_b32_e64 v17, v35, v32, s[2:3]
	v_cndmask_b32_e32 v16, v29, v30, vcc
	v_cndmask_b32_e32 v17, v28, v17, vcc
	v_xor_b32_e32 v28, v16, v3
	v_xor_b32_e32 v16, v17, v3
	v_sub_co_u32_e32 v16, vcc, v16, v3
	v_subb_co_u32_e32 v17, vcc, v28, v3, vcc
.LBB1_47:                               ;   in Loop: Header=BB1_44 Depth=2
	s_andn2_saveexec_b64 s[2:3], s[4:5]
	s_cbranch_execz .LBB1_49
; %bb.48:                               ;   in Loop: Header=BB1_44 Depth=2
	v_cvt_f32_u32_e32 v3, s44
	s_sub_i32 s4, 0, s44
	v_rcp_iflag_f32_e32 v3, v3
	v_mul_f32_e32 v3, 0x4f7ffffe, v3
	v_cvt_u32_f32_e32 v3, v3
	v_mul_lo_u32 v16, s4, v3
	v_mul_hi_u32 v16, v3, v16
	v_add_u32_e32 v3, v3, v16
	v_mul_hi_u32 v3, v26, v3
	v_mul_lo_u32 v16, v3, s44
	v_add_u32_e32 v17, 1, v3
	v_sub_u32_e32 v16, v26, v16
	v_subrev_u32_e32 v28, s44, v16
	v_cmp_le_u32_e32 vcc, s44, v16
	v_cndmask_b32_e32 v16, v16, v28, vcc
	v_cndmask_b32_e32 v3, v3, v17, vcc
	v_add_u32_e32 v17, 1, v3
	v_cmp_le_u32_e32 vcc, s44, v16
	v_cndmask_b32_e32 v16, v3, v17, vcc
	v_mov_b32_e32 v17, v2
.LBB1_49:                               ;   in Loop: Header=BB1_44 Depth=2
	s_or_b64 exec, exec, s[2:3]
	v_mul_lo_u32 v3, v17, s44
	v_mul_lo_u32 v30, v16, s45
	v_mad_u64_u32 v[28:29], s[2:3], v16, s44, 0
	v_add_co_u32_e32 v16, vcc, v16, v14
	v_addc_co_u32_e32 v17, vcc, v17, v15, vcc
	v_add3_u32 v3, v29, v30, v3
	v_mul_lo_u32 v29, v17, s22
	v_mul_lo_u32 v30, v16, s23
	v_mad_u64_u32 v[16:17], s[2:3], v16, s22, 0
	v_sub_co_u32_e32 v26, vcc, v26, v28
	v_subb_co_u32_e32 v27, vcc, v27, v3, vcc
	v_cmp_eq_u64_e64 s[2:3], 0, v[26:27]
	v_add3_u32 v17, v17, v30, v29
	v_mov_b32_e32 v27, v9
	v_mov_b32_e32 v29, v25
	;; [unrolled: 1-line block ×3, first 2 shown]
	s_mov_b64 s[62:63], 0
	v_mov_b32_e32 v26, v8
	v_mov_b32_e32 v28, v24
	;; [unrolled: 1-line block ×3, first 2 shown]
	s_branch .LBB1_52
.LBB1_50:                               ;   in Loop: Header=BB1_52 Depth=3
	s_or_b64 exec, exec, s[4:5]
.LBB1_51:                               ;   in Loop: Header=BB1_52 Depth=3
	s_or_b64 exec, exec, s[64:65]
	v_add_co_u32_e32 v30, vcc, 1, v30
	v_addc_co_u32_e32 v31, vcc, 0, v31, vcc
	v_add_co_u32_e32 v28, vcc, 4, v28
	v_addc_co_u32_e32 v29, vcc, 0, v29, vcc
	v_cmp_ge_i64_e32 vcc, v[30:31], v[22:23]
	v_mov_b32_e32 v3, s43
	s_or_b64 s[62:63], vcc, s[62:63]
	v_subrev_co_u32_e32 v26, vcc, s42, v26
	v_subb_co_u32_e32 v27, vcc, v27, v3, vcc
	s_andn2_b64 exec, exec, s[62:63]
	s_cbranch_execz .LBB1_42
.LBB1_52:                               ;   Parent Loop BB1_4 Depth=1
                                        ;     Parent Loop BB1_44 Depth=2
                                        ; =>    This Inner Loop Header: Depth=3
	s_and_saveexec_b64 s[64:65], s[2:3]
	s_cbranch_execz .LBB1_51
; %bb.53:                               ;   in Loop: Header=BB1_52 Depth=3
	v_or_b32_e32 v3, s47, v27
	v_cmp_ne_u64_e32 vcc, 0, v[2:3]
                                        ; implicit-def: $vgpr32_vgpr33
	s_and_saveexec_b64 s[4:5], vcc
	s_xor_b64 s[66:67], exec, s[4:5]
	s_cbranch_execz .LBB1_55
; %bb.54:                               ;   in Loop: Header=BB1_52 Depth=3
	s_ashr_i32 s68, s47, 31
	s_add_u32 s4, s46, s68
	s_mov_b32 s69, s68
	s_addc_u32 s5, s47, s68
	s_xor_b64 s[70:71], s[4:5], s[68:69]
	v_cvt_f32_u32_e32 v3, s70
	v_cvt_f32_u32_e32 v32, s71
	s_sub_u32 s69, 0, s70
	s_subb_u32 s74, 0, s71
	v_mac_f32_e32 v3, 0x4f800000, v32
	v_rcp_f32_e32 v3, v3
	v_mul_f32_e32 v3, 0x5f7ffffc, v3
	v_mul_f32_e32 v32, 0x2f800000, v3
	v_trunc_f32_e32 v32, v32
	v_mac_f32_e32 v3, 0xcf800000, v32
	v_cvt_u32_f32_e32 v32, v32
	v_cvt_u32_f32_e32 v3, v3
	v_readfirstlane_b32 s75, v32
	v_readfirstlane_b32 s4, v3
	s_mul_i32 s5, s69, s75
	s_mul_hi_u32 s77, s69, s4
	s_mul_i32 s76, s74, s4
	s_add_i32 s5, s77, s5
	s_add_i32 s5, s5, s76
	s_mul_i32 s78, s69, s4
	s_mul_i32 s77, s4, s5
	s_mul_hi_u32 s79, s4, s78
	s_mul_hi_u32 s76, s4, s5
	s_add_u32 s77, s79, s77
	s_addc_u32 s76, 0, s76
	s_mul_hi_u32 s80, s75, s78
	s_mul_i32 s78, s75, s78
	s_add_u32 s77, s77, s78
	s_mul_hi_u32 s79, s75, s5
	s_addc_u32 s76, s76, s80
	s_addc_u32 s77, s79, 0
	s_mul_i32 s5, s75, s5
	s_add_u32 s5, s76, s5
	s_addc_u32 s76, 0, s77
	s_add_u32 s77, s4, s5
	s_cselect_b64 s[4:5], -1, 0
	s_cmp_lg_u64 s[4:5], 0
	s_addc_u32 s75, s75, s76
	s_mul_i32 s4, s69, s75
	s_mul_hi_u32 s5, s69, s77
	s_add_i32 s4, s5, s4
	s_mul_i32 s74, s74, s77
	s_add_i32 s4, s4, s74
	s_mul_i32 s69, s69, s77
	s_mul_hi_u32 s74, s75, s69
	s_mul_i32 s76, s75, s69
	s_mul_i32 s79, s77, s4
	s_mul_hi_u32 s69, s77, s69
	s_mul_hi_u32 s78, s77, s4
	s_add_u32 s69, s69, s79
	s_addc_u32 s78, 0, s78
	s_add_u32 s69, s69, s76
	s_mul_hi_u32 s5, s75, s4
	s_addc_u32 s69, s78, s74
	s_addc_u32 s5, s5, 0
	s_mul_i32 s4, s75, s4
	s_add_u32 s4, s69, s4
	s_addc_u32 s69, 0, s5
	s_add_u32 s74, s77, s4
	s_cselect_b64 s[4:5], -1, 0
	v_ashrrev_i32_e32 v3, 31, v27
	s_cmp_lg_u64 s[4:5], 0
	v_add_co_u32_e32 v32, vcc, v26, v3
	s_addc_u32 s69, s75, s69
	v_xor_b32_e32 v37, v32, v3
	v_mad_u64_u32 v[32:33], s[4:5], v37, s69, 0
	v_mul_hi_u32 v36, v37, s74
	v_addc_co_u32_e32 v35, vcc, v27, v3, vcc
	v_xor_b32_e32 v38, v35, v3
	v_add_co_u32_e32 v39, vcc, v36, v32
	v_addc_co_u32_e32 v40, vcc, 0, v33, vcc
	v_mad_u64_u32 v[32:33], s[4:5], v38, s74, 0
	v_mad_u64_u32 v[35:36], s[4:5], v38, s69, 0
	v_add_co_u32_e32 v32, vcc, v39, v32
	v_addc_co_u32_e32 v32, vcc, v40, v33, vcc
	v_addc_co_u32_e32 v33, vcc, 0, v36, vcc
	v_add_co_u32_e32 v35, vcc, v32, v35
	v_addc_co_u32_e32 v36, vcc, 0, v33, vcc
	v_mul_lo_u32 v39, s71, v35
	v_mul_lo_u32 v40, s70, v36
	v_mad_u64_u32 v[32:33], s[4:5], s70, v35, 0
	v_xor_b32_e32 v3, s68, v3
	v_add3_u32 v33, v33, v40, v39
	v_sub_u32_e32 v39, v38, v33
	v_mov_b32_e32 v40, s71
	v_sub_co_u32_e32 v32, vcc, v37, v32
	v_subb_co_u32_e64 v37, s[4:5], v39, v40, vcc
	v_subrev_co_u32_e64 v39, s[4:5], s70, v32
	v_subbrev_co_u32_e64 v37, s[4:5], 0, v37, s[4:5]
	v_cmp_le_u32_e64 s[4:5], s71, v37
	v_cndmask_b32_e64 v40, 0, -1, s[4:5]
	v_cmp_le_u32_e64 s[4:5], s70, v39
	v_cndmask_b32_e64 v39, 0, -1, s[4:5]
	v_cmp_eq_u32_e64 s[4:5], s71, v37
	v_cndmask_b32_e64 v37, v40, v39, s[4:5]
	v_add_co_u32_e64 v39, s[4:5], 2, v35
	v_subb_co_u32_e32 v33, vcc, v38, v33, vcc
	v_addc_co_u32_e64 v40, s[4:5], 0, v36, s[4:5]
	v_cmp_le_u32_e32 vcc, s71, v33
	v_add_co_u32_e64 v41, s[4:5], 1, v35
	v_cndmask_b32_e64 v38, 0, -1, vcc
	v_cmp_le_u32_e32 vcc, s70, v32
	v_addc_co_u32_e64 v42, s[4:5], 0, v36, s[4:5]
	v_cndmask_b32_e64 v32, 0, -1, vcc
	v_cmp_eq_u32_e32 vcc, s71, v33
	v_cmp_ne_u32_e64 s[4:5], 0, v37
	v_cndmask_b32_e32 v32, v38, v32, vcc
	v_cndmask_b32_e64 v37, v42, v40, s[4:5]
	v_cmp_ne_u32_e32 vcc, 0, v32
	v_cndmask_b32_e64 v33, v41, v39, s[4:5]
	v_cndmask_b32_e32 v32, v36, v37, vcc
	v_cndmask_b32_e32 v33, v35, v33, vcc
	v_xor_b32_e32 v35, v32, v3
	v_xor_b32_e32 v32, v33, v3
	v_sub_co_u32_e32 v32, vcc, v32, v3
	v_subb_co_u32_e32 v33, vcc, v35, v3, vcc
.LBB1_55:                               ;   in Loop: Header=BB1_52 Depth=3
	s_andn2_saveexec_b64 s[4:5], s[66:67]
	s_cbranch_execz .LBB1_57
; %bb.56:                               ;   in Loop: Header=BB1_52 Depth=3
	v_cvt_f32_u32_e32 v3, s46
	s_sub_i32 s66, 0, s46
	v_rcp_iflag_f32_e32 v3, v3
	v_mul_f32_e32 v3, 0x4f7ffffe, v3
	v_cvt_u32_f32_e32 v3, v3
	v_mul_lo_u32 v32, s66, v3
	v_mul_hi_u32 v32, v3, v32
	v_add_u32_e32 v3, v3, v32
	v_mul_hi_u32 v3, v26, v3
	v_mul_lo_u32 v32, v3, s46
	v_add_u32_e32 v33, 1, v3
	v_sub_u32_e32 v32, v26, v32
	v_subrev_u32_e32 v35, s46, v32
	v_cmp_le_u32_e32 vcc, s46, v32
	v_cndmask_b32_e32 v32, v32, v35, vcc
	v_cndmask_b32_e32 v3, v3, v33, vcc
	v_add_u32_e32 v33, 1, v3
	v_cmp_le_u32_e32 vcc, s46, v32
	v_cndmask_b32_e32 v32, v3, v33, vcc
	v_mov_b32_e32 v33, v2
.LBB1_57:                               ;   in Loop: Header=BB1_52 Depth=3
	s_or_b64 exec, exec, s[4:5]
	v_mul_lo_u32 v3, v33, s46
	v_mul_lo_u32 v37, v32, s47
	v_mad_u64_u32 v[35:36], s[4:5], v32, s46, 0
	v_add3_u32 v3, v36, v37, v3
	v_sub_co_u32_e32 v35, vcc, v26, v35
	v_subb_co_u32_e32 v36, vcc, v27, v3, vcc
	v_cmp_eq_u64_e32 vcc, 0, v[35:36]
	s_and_saveexec_b64 s[4:5], vcc
	s_cbranch_execz .LBB1_50
; %bb.58:                               ;   in Loop: Header=BB1_52 Depth=3
	v_add_co_u32_e32 v3, vcc, v16, v32
	v_addc_co_u32_e32 v32, vcc, v17, v33, vcc
	v_mul_lo_u32 v35, v3, s49
	v_mul_lo_u32 v36, v32, s48
	v_mad_u64_u32 v[32:33], s[66:67], v3, s48, v[18:19]
	v_add3_u32 v3, v36, v33, v35
	v_mul_lo_u32 v3, s52, v3
	v_mul_lo_u32 v35, s53, v32
	v_mad_u64_u32 v[32:33], s[66:67], s52, v32, v[28:29]
	v_add3_u32 v33, v35, v33, v3
	global_load_dword v3, v[32:33], off
	s_waitcnt vmcnt(0)
	v_add_f32_e32 v34, v34, v3
	s_branch .LBB1_50
.LBB1_59:
	s_endpgm
	.section	.rodata,"a",@progbits
	.p2align	6, 0x0
	.amdhsa_kernel _ZN2at6native21col2im_batched_kernelIfEEvlPKT_llllllllllllllPS2_l
		.amdhsa_group_segment_fixed_size 0
		.amdhsa_private_segment_fixed_size 0
		.amdhsa_kernarg_size 400
		.amdhsa_user_sgpr_count 6
		.amdhsa_user_sgpr_private_segment_buffer 1
		.amdhsa_user_sgpr_dispatch_ptr 0
		.amdhsa_user_sgpr_queue_ptr 0
		.amdhsa_user_sgpr_kernarg_segment_ptr 1
		.amdhsa_user_sgpr_dispatch_id 0
		.amdhsa_user_sgpr_flat_scratch_init 0
		.amdhsa_user_sgpr_private_segment_size 0
		.amdhsa_uses_dynamic_stack 0
		.amdhsa_system_sgpr_private_segment_wavefront_offset 0
		.amdhsa_system_sgpr_workgroup_id_x 1
		.amdhsa_system_sgpr_workgroup_id_y 0
		.amdhsa_system_sgpr_workgroup_id_z 0
		.amdhsa_system_sgpr_workgroup_info 0
		.amdhsa_system_vgpr_workitem_id 0
		.amdhsa_next_free_vgpr 43
		.amdhsa_next_free_sgpr 81
		.amdhsa_reserve_vcc 1
		.amdhsa_reserve_flat_scratch 0
		.amdhsa_float_round_mode_32 0
		.amdhsa_float_round_mode_16_64 0
		.amdhsa_float_denorm_mode_32 3
		.amdhsa_float_denorm_mode_16_64 3
		.amdhsa_dx10_clamp 1
		.amdhsa_ieee_mode 1
		.amdhsa_fp16_overflow 0
		.amdhsa_exception_fp_ieee_invalid_op 0
		.amdhsa_exception_fp_denorm_src 0
		.amdhsa_exception_fp_ieee_div_zero 0
		.amdhsa_exception_fp_ieee_overflow 0
		.amdhsa_exception_fp_ieee_underflow 0
		.amdhsa_exception_fp_ieee_inexact 0
		.amdhsa_exception_int_div_zero 0
	.end_amdhsa_kernel
	.section	.text._ZN2at6native21col2im_batched_kernelIfEEvlPKT_llllllllllllllPS2_l,"axG",@progbits,_ZN2at6native21col2im_batched_kernelIfEEvlPKT_llllllllllllllPS2_l,comdat
.Lfunc_end1:
	.size	_ZN2at6native21col2im_batched_kernelIfEEvlPKT_llllllllllllllPS2_l, .Lfunc_end1-_ZN2at6native21col2im_batched_kernelIfEEvlPKT_llllllllllllllPS2_l
                                        ; -- End function
	.set _ZN2at6native21col2im_batched_kernelIfEEvlPKT_llllllllllllllPS2_l.num_vgpr, 43
	.set _ZN2at6native21col2im_batched_kernelIfEEvlPKT_llllllllllllllPS2_l.num_agpr, 0
	.set _ZN2at6native21col2im_batched_kernelIfEEvlPKT_llllllllllllllPS2_l.numbered_sgpr, 81
	.set _ZN2at6native21col2im_batched_kernelIfEEvlPKT_llllllllllllllPS2_l.num_named_barrier, 0
	.set _ZN2at6native21col2im_batched_kernelIfEEvlPKT_llllllllllllllPS2_l.private_seg_size, 0
	.set _ZN2at6native21col2im_batched_kernelIfEEvlPKT_llllllllllllllPS2_l.uses_vcc, 1
	.set _ZN2at6native21col2im_batched_kernelIfEEvlPKT_llllllllllllllPS2_l.uses_flat_scratch, 0
	.set _ZN2at6native21col2im_batched_kernelIfEEvlPKT_llllllllllllllPS2_l.has_dyn_sized_stack, 0
	.set _ZN2at6native21col2im_batched_kernelIfEEvlPKT_llllllllllllllPS2_l.has_recursion, 0
	.set _ZN2at6native21col2im_batched_kernelIfEEvlPKT_llllllllllllllPS2_l.has_indirect_call, 0
	.section	.AMDGPU.csdata,"",@progbits
; Kernel info:
; codeLenInByte = 8536
; TotalNumSgprs: 85
; NumVgprs: 43
; ScratchSize: 0
; MemoryBound: 0
; FloatMode: 240
; IeeeMode: 1
; LDSByteSize: 0 bytes/workgroup (compile time only)
; SGPRBlocks: 10
; VGPRBlocks: 10
; NumSGPRsForWavesPerEU: 85
; NumVGPRsForWavesPerEU: 43
; Occupancy: 5
; WaveLimiterHint : 0
; COMPUTE_PGM_RSRC2:SCRATCH_EN: 0
; COMPUTE_PGM_RSRC2:USER_SGPR: 6
; COMPUTE_PGM_RSRC2:TRAP_HANDLER: 0
; COMPUTE_PGM_RSRC2:TGID_X_EN: 1
; COMPUTE_PGM_RSRC2:TGID_Y_EN: 0
; COMPUTE_PGM_RSRC2:TGID_Z_EN: 0
; COMPUTE_PGM_RSRC2:TIDIG_COMP_CNT: 0
	.section	.text._ZN2at6native21col2im_batched_kernelIN3c107complexIdEEEEvlPKT_llllllllllllllPS5_l,"axG",@progbits,_ZN2at6native21col2im_batched_kernelIN3c107complexIdEEEEvlPKT_llllllllllllllPS5_l,comdat
	.protected	_ZN2at6native21col2im_batched_kernelIN3c107complexIdEEEEvlPKT_llllllllllllllPS5_l ; -- Begin function _ZN2at6native21col2im_batched_kernelIN3c107complexIdEEEEvlPKT_llllllllllllllPS5_l
	.globl	_ZN2at6native21col2im_batched_kernelIN3c107complexIdEEEEvlPKT_llllllllllllllPS5_l
	.p2align	8
	.type	_ZN2at6native21col2im_batched_kernelIN3c107complexIdEEEEvlPKT_llllllllllllllPS5_l,@function
_ZN2at6native21col2im_batched_kernelIN3c107complexIdEEEEvlPKT_llllllllllllllPS5_l: ; @_ZN2at6native21col2im_batched_kernelIN3c107complexIdEEEEvlPKT_llllllllllllllPS5_l
; %bb.0:
	s_load_dwordx16 s[8:23], s[4:5], 0x0
	s_load_dword s2, s[4:5], 0x9c
	v_mov_b32_e32 v4, 0
	v_mov_b32_e32 v1, v4
	;; [unrolled: 1-line block ×3, first 2 shown]
	s_waitcnt lgkmcnt(0)
	s_mul_i32 s0, s14, s9
	s_mul_hi_u32 s1, s14, s8
	s_add_i32 s0, s1, s0
	s_mul_i32 s1, s15, s8
	s_add_i32 s7, s0, s1
	s_add_u32 s0, s4, 0x90
	s_addc_u32 s1, s5, 0
	s_and_b32 s2, s2, 0xffff
	v_mad_u64_u32 v[6:7], s[24:25], s2, v2, v[0:1]
	s_mul_i32 s6, s14, s8
	v_cmp_gt_i64_e32 vcc, s[6:7], v[6:7]
	s_and_saveexec_b64 s[14:15], vcc
	s_cbranch_execz .LBB2_59
; %bb.1:
	s_load_dwordx16 s[36:51], s[4:5], 0x40
	s_load_dwordx4 s[24:27], s[4:5], 0x80
	s_load_dword s3, s[0:1], 0x0
	s_mul_i32 s0, s18, s17
	s_mul_hi_u32 s1, s18, s16
	s_add_i32 s0, s1, s0
	s_mul_i32 s1, s19, s16
	s_add_i32 s33, s0, s1
	s_add_u32 s0, s22, -1
	s_addc_u32 s1, s23, -1
	s_waitcnt lgkmcnt(0)
	s_mul_i32 s1, s46, s1
	s_mul_hi_u32 s4, s46, s0
	s_add_i32 s1, s4, s1
	s_mul_i32 s4, s47, s0
	s_add_i32 s15, s1, s4
	s_mul_i32 s14, s46, s0
	s_add_u32 s0, s20, -1
	s_addc_u32 s1, s21, -1
	s_mul_i32 s1, s44, s1
	s_mul_hi_u32 s4, s44, s0
	s_add_i32 s1, s4, s1
	s_mul_i32 s4, s45, s0
	s_add_i32 s29, s1, s4
	s_mul_i32 s28, s44, s0
	s_mul_i32 s72, s18, s16
	s_not_b64 s[30:31], s[28:29]
	s_not_b64 s[34:35], s[14:15]
	s_mul_i32 s73, s3, s2
	s_lshl_b64 s[52:53], s[50:51], 4
	s_lshl_b64 s[12:13], s[12:13], 4
	s_mov_b64 s[54:55], 0
	s_branch .LBB2_4
.LBB2_2:                                ;   in Loop: Header=BB2_4 Depth=1
	s_or_b64 exec, exec, s[58:59]
.LBB2_3:                                ;   in Loop: Header=BB2_4 Depth=1
	s_or_b64 exec, exec, s[56:57]
	v_mul_lo_u32 v5, v9, s26
	v_mul_lo_u32 v12, v8, s27
	v_mad_u64_u32 v[8:9], s[0:1], v8, s26, 0
	v_add3_u32 v9, v9, v12, v5
	v_lshlrev_b64 v[8:9], 4, v[8:9]
	v_mov_b32_e32 v5, s25
	v_add_co_u32_e32 v12, vcc, s24, v8
	v_addc_co_u32_e32 v5, vcc, v5, v9, vcc
	v_add_co_u32_e32 v6, vcc, s73, v6
	v_lshlrev_b64 v[8:9], 4, v[10:11]
	v_addc_co_u32_e32 v7, vcc, 0, v7, vcc
	v_cmp_le_i64_e32 vcc, s[6:7], v[6:7]
	v_add_co_u32_e64 v8, s[0:1], v12, v8
	v_addc_co_u32_e64 v9, s[0:1], v5, v9, s[0:1]
	s_or_b64 s[54:55], vcc, s[54:55]
	global_store_dwordx4 v[8:9], v[0:3], off
	s_andn2_b64 exec, exec, s[54:55]
	s_cbranch_execz .LBB2_59
.LBB2_4:                                ; =>This Loop Header: Depth=1
                                        ;     Child Loop BB2_44 Depth 2
                                        ;       Child Loop BB2_52 Depth 3
	v_or_b32_e32 v5, s9, v7
	v_cmp_ne_u64_e32 vcc, 0, v[4:5]
                                        ; implicit-def: $vgpr8_vgpr9
	s_and_saveexec_b64 s[0:1], vcc
	s_xor_b64 s[2:3], exec, s[0:1]
	s_cbranch_execz .LBB2_6
; %bb.5:                                ;   in Loop: Header=BB2_4 Depth=1
	s_ashr_i32 s4, s9, 31
	s_add_u32 s0, s8, s4
	s_mov_b32 s5, s4
	s_addc_u32 s1, s9, s4
	s_xor_b64 s[56:57], s[0:1], s[4:5]
	v_cvt_f32_u32_e32 v0, s56
	v_cvt_f32_u32_e32 v1, s57
	s_sub_u32 s5, 0, s56
	s_subb_u32 s58, 0, s57
	v_ashrrev_i32_e32 v5, 31, v7
	v_mac_f32_e32 v0, 0x4f800000, v1
	v_rcp_f32_e32 v0, v0
	v_mul_f32_e32 v0, 0x5f7ffffc, v0
	v_mul_f32_e32 v1, 0x2f800000, v0
	v_trunc_f32_e32 v1, v1
	v_mac_f32_e32 v0, 0xcf800000, v1
	v_cvt_u32_f32_e32 v1, v1
	v_cvt_u32_f32_e32 v0, v0
	v_readfirstlane_b32 s59, v1
	v_readfirstlane_b32 s0, v0
	s_mul_i32 s1, s5, s59
	s_mul_hi_u32 s61, s5, s0
	s_mul_i32 s60, s58, s0
	s_add_i32 s1, s61, s1
	s_add_i32 s1, s1, s60
	s_mul_i32 s62, s5, s0
	s_mul_i32 s61, s0, s1
	s_mul_hi_u32 s63, s0, s62
	s_mul_hi_u32 s60, s0, s1
	s_add_u32 s61, s63, s61
	s_addc_u32 s60, 0, s60
	s_mul_hi_u32 s64, s59, s62
	s_mul_i32 s62, s59, s62
	s_add_u32 s61, s61, s62
	s_mul_hi_u32 s63, s59, s1
	s_addc_u32 s60, s60, s64
	s_addc_u32 s61, s63, 0
	s_mul_i32 s1, s59, s1
	s_add_u32 s1, s60, s1
	s_addc_u32 s60, 0, s61
	s_add_u32 s61, s0, s1
	s_cselect_b64 s[0:1], -1, 0
	s_cmp_lg_u64 s[0:1], 0
	s_addc_u32 s59, s59, s60
	s_mul_i32 s0, s5, s59
	s_mul_hi_u32 s1, s5, s61
	s_add_i32 s0, s1, s0
	s_mul_i32 s58, s58, s61
	s_add_i32 s0, s0, s58
	s_mul_i32 s5, s5, s61
	s_mul_hi_u32 s58, s59, s5
	s_mul_i32 s60, s59, s5
	s_mul_i32 s63, s61, s0
	s_mul_hi_u32 s5, s61, s5
	s_mul_hi_u32 s62, s61, s0
	s_add_u32 s5, s5, s63
	s_addc_u32 s62, 0, s62
	s_add_u32 s5, s5, s60
	s_mul_hi_u32 s1, s59, s0
	s_addc_u32 s5, s62, s58
	s_addc_u32 s1, s1, 0
	s_mul_i32 s0, s59, s0
	s_add_u32 s0, s5, s0
	s_addc_u32 s5, 0, s1
	s_add_u32 s58, s61, s0
	s_cselect_b64 s[0:1], -1, 0
	s_cmp_lg_u64 s[0:1], 0
	v_add_co_u32_e32 v0, vcc, v6, v5
	s_addc_u32 s5, s59, s5
	v_xor_b32_e32 v8, v0, v5
	v_mad_u64_u32 v[0:1], s[0:1], v8, s5, 0
	v_mul_hi_u32 v3, v8, s58
	v_addc_co_u32_e32 v2, vcc, v7, v5, vcc
	v_xor_b32_e32 v9, v2, v5
	v_add_co_u32_e32 v10, vcc, v3, v0
	v_addc_co_u32_e32 v11, vcc, 0, v1, vcc
	v_mad_u64_u32 v[0:1], s[0:1], v9, s58, 0
	v_mad_u64_u32 v[2:3], s[0:1], v9, s5, 0
	v_add_co_u32_e32 v0, vcc, v10, v0
	v_addc_co_u32_e32 v0, vcc, v11, v1, vcc
	v_addc_co_u32_e32 v1, vcc, 0, v3, vcc
	v_add_co_u32_e32 v2, vcc, v0, v2
	v_addc_co_u32_e32 v3, vcc, 0, v1, vcc
	v_mul_lo_u32 v10, s57, v2
	v_mul_lo_u32 v11, s56, v3
	v_mad_u64_u32 v[0:1], s[0:1], s56, v2, 0
	v_add3_u32 v1, v1, v11, v10
	v_sub_u32_e32 v10, v9, v1
	v_mov_b32_e32 v11, s57
	v_sub_co_u32_e32 v0, vcc, v8, v0
	v_subb_co_u32_e64 v8, s[0:1], v10, v11, vcc
	v_subrev_co_u32_e64 v10, s[0:1], s56, v0
	v_subbrev_co_u32_e64 v8, s[0:1], 0, v8, s[0:1]
	v_cmp_le_u32_e64 s[0:1], s57, v8
	v_cndmask_b32_e64 v11, 0, -1, s[0:1]
	v_cmp_le_u32_e64 s[0:1], s56, v10
	v_cndmask_b32_e64 v10, 0, -1, s[0:1]
	v_cmp_eq_u32_e64 s[0:1], s57, v8
	v_cndmask_b32_e64 v8, v11, v10, s[0:1]
	v_add_co_u32_e64 v10, s[0:1], 2, v2
	v_subb_co_u32_e32 v1, vcc, v9, v1, vcc
	v_addc_co_u32_e64 v11, s[0:1], 0, v3, s[0:1]
	v_cmp_le_u32_e32 vcc, s57, v1
	v_add_co_u32_e64 v12, s[0:1], 1, v2
	v_cndmask_b32_e64 v9, 0, -1, vcc
	v_cmp_le_u32_e32 vcc, s56, v0
	v_addc_co_u32_e64 v13, s[0:1], 0, v3, s[0:1]
	v_cndmask_b32_e64 v0, 0, -1, vcc
	v_cmp_eq_u32_e32 vcc, s57, v1
	v_cmp_ne_u32_e64 s[0:1], 0, v8
	v_cndmask_b32_e32 v0, v9, v0, vcc
	v_cmp_ne_u32_e32 vcc, 0, v0
	v_cndmask_b32_e64 v1, v12, v10, s[0:1]
	v_cndmask_b32_e64 v8, v13, v11, s[0:1]
	v_cndmask_b32_e32 v1, v2, v1, vcc
	v_xor_b32_e32 v2, s4, v5
	v_cndmask_b32_e32 v0, v3, v8, vcc
	v_xor_b32_e32 v1, v1, v2
	v_xor_b32_e32 v0, v0, v2
	v_sub_co_u32_e32 v8, vcc, v1, v2
	v_subb_co_u32_e32 v9, vcc, v0, v2, vcc
.LBB2_6:                                ;   in Loop: Header=BB2_4 Depth=1
	s_andn2_saveexec_b64 s[0:1], s[2:3]
	s_cbranch_execz .LBB2_8
; %bb.7:                                ;   in Loop: Header=BB2_4 Depth=1
	v_cvt_f32_u32_e32 v0, s8
	s_sub_i32 s2, 0, s8
	v_mov_b32_e32 v9, v4
	v_rcp_iflag_f32_e32 v0, v0
	v_mul_f32_e32 v0, 0x4f7ffffe, v0
	v_cvt_u32_f32_e32 v0, v0
	v_mul_lo_u32 v1, s2, v0
	v_mul_hi_u32 v1, v0, v1
	v_add_u32_e32 v0, v0, v1
	v_mul_hi_u32 v0, v6, v0
	v_mul_lo_u32 v1, v0, s8
	v_add_u32_e32 v2, 1, v0
	v_sub_u32_e32 v1, v6, v1
	v_subrev_u32_e32 v3, s8, v1
	v_cmp_le_u32_e32 vcc, s8, v1
	v_cndmask_b32_e32 v1, v1, v3, vcc
	v_cndmask_b32_e32 v0, v0, v2, vcc
	v_add_u32_e32 v2, 1, v0
	v_cmp_le_u32_e32 vcc, s8, v1
	v_cndmask_b32_e32 v8, v0, v2, vcc
.LBB2_8:                                ;   in Loop: Header=BB2_4 Depth=1
	s_or_b64 exec, exec, s[0:1]
	v_mul_lo_u32 v0, v9, s8
	v_mul_lo_u32 v1, v8, s9
	v_mad_u64_u32 v[12:13], s[0:1], v8, s8, 0
                                        ; implicit-def: $vgpr2_vgpr3
	v_add3_u32 v13, v13, v1, v0
	v_sub_co_u32_e32 v10, vcc, v6, v12
	v_subb_co_u32_e32 v11, vcc, v7, v13, vcc
	v_or_b32_e32 v5, s19, v11
	v_cmp_ne_u64_e32 vcc, 0, v[4:5]
	v_ashrrev_i32_e32 v14, 31, v11
	s_and_saveexec_b64 s[0:1], vcc
	s_xor_b64 s[2:3], exec, s[0:1]
	s_cbranch_execz .LBB2_10
; %bb.9:                                ;   in Loop: Header=BB2_4 Depth=1
	s_ashr_i32 s4, s19, 31
	s_add_u32 s0, s18, s4
	s_mov_b32 s5, s4
	s_addc_u32 s1, s19, s4
	s_xor_b64 s[56:57], s[0:1], s[4:5]
	v_cvt_f32_u32_e32 v0, s56
	v_cvt_f32_u32_e32 v1, s57
	s_sub_u32 s5, 0, s56
	s_subb_u32 s58, 0, s57
	v_mac_f32_e32 v0, 0x4f800000, v1
	v_rcp_f32_e32 v0, v0
	v_mul_f32_e32 v0, 0x5f7ffffc, v0
	v_mul_f32_e32 v1, 0x2f800000, v0
	v_trunc_f32_e32 v1, v1
	v_mac_f32_e32 v0, 0xcf800000, v1
	v_cvt_u32_f32_e32 v1, v1
	v_cvt_u32_f32_e32 v0, v0
	v_readfirstlane_b32 s59, v1
	v_readfirstlane_b32 s0, v0
	s_mul_i32 s1, s5, s59
	s_mul_hi_u32 s61, s5, s0
	s_mul_i32 s60, s58, s0
	s_add_i32 s1, s61, s1
	s_add_i32 s1, s1, s60
	s_mul_i32 s62, s5, s0
	s_mul_i32 s61, s0, s1
	s_mul_hi_u32 s63, s0, s62
	s_mul_hi_u32 s60, s0, s1
	s_add_u32 s61, s63, s61
	s_addc_u32 s60, 0, s60
	s_mul_hi_u32 s64, s59, s62
	s_mul_i32 s62, s59, s62
	s_add_u32 s61, s61, s62
	s_mul_hi_u32 s63, s59, s1
	s_addc_u32 s60, s60, s64
	s_addc_u32 s61, s63, 0
	s_mul_i32 s1, s59, s1
	s_add_u32 s1, s60, s1
	s_addc_u32 s60, 0, s61
	s_add_u32 s61, s0, s1
	s_cselect_b64 s[0:1], -1, 0
	s_cmp_lg_u64 s[0:1], 0
	s_addc_u32 s59, s59, s60
	s_mul_i32 s0, s5, s59
	s_mul_hi_u32 s1, s5, s61
	s_add_i32 s0, s1, s0
	s_mul_i32 s58, s58, s61
	s_add_i32 s0, s0, s58
	s_mul_i32 s5, s5, s61
	s_mul_hi_u32 s58, s59, s5
	s_mul_i32 s60, s59, s5
	s_mul_i32 s63, s61, s0
	s_mul_hi_u32 s5, s61, s5
	s_mul_hi_u32 s62, s61, s0
	s_add_u32 s5, s5, s63
	s_addc_u32 s62, 0, s62
	s_add_u32 s5, s5, s60
	s_mul_hi_u32 s1, s59, s0
	s_addc_u32 s5, s62, s58
	s_addc_u32 s1, s1, 0
	s_mul_i32 s0, s59, s0
	s_add_u32 s0, s5, s0
	s_addc_u32 s5, 0, s1
	s_add_u32 s58, s61, s0
	s_cselect_b64 s[0:1], -1, 0
	s_cmp_lg_u64 s[0:1], 0
	v_add_co_u32_e32 v0, vcc, v10, v14
	s_addc_u32 s5, s59, s5
	v_xor_b32_e32 v5, v0, v14
	v_mad_u64_u32 v[0:1], s[0:1], v5, s5, 0
	v_mul_hi_u32 v3, v5, s58
	v_addc_co_u32_e32 v2, vcc, v11, v14, vcc
	v_xor_b32_e32 v15, v2, v14
	v_add_co_u32_e32 v16, vcc, v3, v0
	v_addc_co_u32_e32 v17, vcc, 0, v1, vcc
	v_mad_u64_u32 v[0:1], s[0:1], v15, s58, 0
	v_mad_u64_u32 v[2:3], s[0:1], v15, s5, 0
	v_add_co_u32_e32 v0, vcc, v16, v0
	v_addc_co_u32_e32 v0, vcc, v17, v1, vcc
	v_addc_co_u32_e32 v1, vcc, 0, v3, vcc
	v_add_co_u32_e32 v2, vcc, v0, v2
	v_addc_co_u32_e32 v3, vcc, 0, v1, vcc
	v_mul_lo_u32 v16, s57, v2
	v_mul_lo_u32 v17, s56, v3
	v_mad_u64_u32 v[0:1], s[0:1], s56, v2, 0
	v_add3_u32 v1, v1, v17, v16
	v_sub_u32_e32 v16, v15, v1
	v_mov_b32_e32 v17, s57
	v_sub_co_u32_e32 v0, vcc, v5, v0
	v_subb_co_u32_e64 v5, s[0:1], v16, v17, vcc
	v_subrev_co_u32_e64 v16, s[0:1], s56, v0
	v_subbrev_co_u32_e64 v5, s[0:1], 0, v5, s[0:1]
	v_cmp_le_u32_e64 s[0:1], s57, v5
	v_cndmask_b32_e64 v17, 0, -1, s[0:1]
	v_cmp_le_u32_e64 s[0:1], s56, v16
	v_cndmask_b32_e64 v16, 0, -1, s[0:1]
	v_cmp_eq_u32_e64 s[0:1], s57, v5
	v_cndmask_b32_e64 v5, v17, v16, s[0:1]
	v_add_co_u32_e64 v16, s[0:1], 2, v2
	v_subb_co_u32_e32 v1, vcc, v15, v1, vcc
	v_addc_co_u32_e64 v17, s[0:1], 0, v3, s[0:1]
	v_cmp_le_u32_e32 vcc, s57, v1
	v_add_co_u32_e64 v18, s[0:1], 1, v2
	v_cndmask_b32_e64 v15, 0, -1, vcc
	v_cmp_le_u32_e32 vcc, s56, v0
	v_addc_co_u32_e64 v19, s[0:1], 0, v3, s[0:1]
	v_cndmask_b32_e64 v0, 0, -1, vcc
	v_cmp_eq_u32_e32 vcc, s57, v1
	v_cmp_ne_u32_e64 s[0:1], 0, v5
	v_cndmask_b32_e32 v0, v15, v0, vcc
	v_cndmask_b32_e64 v5, v19, v17, s[0:1]
	v_cmp_ne_u32_e32 vcc, 0, v0
	v_cndmask_b32_e64 v1, v18, v16, s[0:1]
	v_cndmask_b32_e32 v0, v3, v5, vcc
	v_cndmask_b32_e32 v1, v2, v1, vcc
	v_xor_b32_e32 v3, s4, v14
	v_xor_b32_e32 v1, v1, v3
	;; [unrolled: 1-line block ×3, first 2 shown]
	v_sub_co_u32_e32 v2, vcc, v1, v3
	v_subb_co_u32_e32 v3, vcc, v0, v3, vcc
.LBB2_10:                               ;   in Loop: Header=BB2_4 Depth=1
	s_andn2_saveexec_b64 s[0:1], s[2:3]
	s_cbranch_execz .LBB2_12
; %bb.11:                               ;   in Loop: Header=BB2_4 Depth=1
	v_cvt_f32_u32_e32 v0, s18
	s_sub_i32 s2, 0, s18
	v_rcp_iflag_f32_e32 v0, v0
	v_mul_f32_e32 v0, 0x4f7ffffe, v0
	v_cvt_u32_f32_e32 v0, v0
	v_mul_lo_u32 v1, s2, v0
	v_mul_hi_u32 v1, v0, v1
	v_add_u32_e32 v0, v0, v1
	v_mul_hi_u32 v0, v10, v0
	v_mul_lo_u32 v1, v0, s18
	v_add_u32_e32 v2, 1, v0
	v_sub_u32_e32 v1, v10, v1
	v_subrev_u32_e32 v3, s18, v1
	v_cmp_le_u32_e32 vcc, s18, v1
	v_cndmask_b32_e32 v1, v1, v3, vcc
	v_cndmask_b32_e32 v0, v0, v2, vcc
	v_add_u32_e32 v2, 1, v0
	v_cmp_le_u32_e32 vcc, s18, v1
	v_cndmask_b32_e32 v2, v0, v2, vcc
	v_mov_b32_e32 v3, v4
.LBB2_12:                               ;   in Loop: Header=BB2_4 Depth=1
	s_or_b64 exec, exec, s[0:1]
	v_or_b32_e32 v5, s17, v3
	v_cmp_ne_u64_e32 vcc, 0, v[4:5]
                                        ; implicit-def: $vgpr0_vgpr1
	s_and_saveexec_b64 s[0:1], vcc
	s_xor_b64 s[4:5], exec, s[0:1]
	s_cbranch_execz .LBB2_14
; %bb.13:                               ;   in Loop: Header=BB2_4 Depth=1
	s_ashr_i32 s0, s17, 31
	s_add_u32 s2, s16, s0
	s_mov_b32 s1, s0
	s_addc_u32 s3, s17, s0
	s_xor_b64 s[56:57], s[2:3], s[0:1]
	v_cvt_f32_u32_e32 v0, s56
	v_cvt_f32_u32_e32 v1, s57
	s_sub_u32 s2, 0, s56
	s_subb_u32 s3, 0, s57
	v_ashrrev_i32_e32 v5, 31, v3
	v_mac_f32_e32 v0, 0x4f800000, v1
	v_rcp_f32_e32 v0, v0
	v_mul_f32_e32 v0, 0x5f7ffffc, v0
	v_mul_f32_e32 v1, 0x2f800000, v0
	v_trunc_f32_e32 v1, v1
	v_mac_f32_e32 v0, 0xcf800000, v1
	v_cvt_u32_f32_e32 v1, v1
	v_cvt_u32_f32_e32 v0, v0
	v_readfirstlane_b32 s58, v1
	v_readfirstlane_b32 s0, v0
	s_mul_i32 s1, s2, s58
	s_mul_hi_u32 s60, s2, s0
	s_mul_i32 s59, s3, s0
	s_add_i32 s1, s60, s1
	s_add_i32 s1, s1, s59
	s_mul_i32 s61, s2, s0
	s_mul_i32 s60, s0, s1
	s_mul_hi_u32 s62, s0, s61
	s_mul_hi_u32 s59, s0, s1
	s_add_u32 s60, s62, s60
	s_addc_u32 s59, 0, s59
	s_mul_hi_u32 s63, s58, s61
	s_mul_i32 s61, s58, s61
	s_add_u32 s60, s60, s61
	s_mul_hi_u32 s62, s58, s1
	s_addc_u32 s59, s59, s63
	s_addc_u32 s60, s62, 0
	s_mul_i32 s1, s58, s1
	s_add_u32 s1, s59, s1
	s_addc_u32 s59, 0, s60
	s_add_u32 s60, s0, s1
	s_cselect_b64 s[0:1], -1, 0
	s_cmp_lg_u64 s[0:1], 0
	s_addc_u32 s58, s58, s59
	s_mul_i32 s0, s2, s58
	s_mul_hi_u32 s1, s2, s60
	s_add_i32 s0, s1, s0
	s_mul_i32 s3, s3, s60
	s_add_i32 s0, s0, s3
	s_mul_i32 s2, s2, s60
	s_mul_hi_u32 s3, s58, s2
	s_mul_i32 s59, s58, s2
	s_mul_i32 s62, s60, s0
	s_mul_hi_u32 s2, s60, s2
	s_mul_hi_u32 s61, s60, s0
	s_add_u32 s2, s2, s62
	s_addc_u32 s61, 0, s61
	s_add_u32 s2, s2, s59
	s_mul_hi_u32 s1, s58, s0
	s_addc_u32 s2, s61, s3
	s_addc_u32 s1, s1, 0
	s_mul_i32 s0, s58, s0
	s_add_u32 s0, s2, s0
	s_addc_u32 s2, 0, s1
	s_add_u32 s3, s60, s0
	s_cselect_b64 s[0:1], -1, 0
	s_cmp_lg_u64 s[0:1], 0
	v_add_co_u32_e32 v0, vcc, v2, v5
	s_addc_u32 s2, s58, s2
	v_xor_b32_e32 v17, v0, v5
	v_mad_u64_u32 v[0:1], s[0:1], v17, s2, 0
	v_mul_hi_u32 v16, v17, s3
	v_addc_co_u32_e32 v15, vcc, v3, v5, vcc
	v_xor_b32_e32 v18, v15, v5
	v_add_co_u32_e32 v19, vcc, v16, v0
	v_addc_co_u32_e32 v20, vcc, 0, v1, vcc
	v_mad_u64_u32 v[0:1], s[0:1], v18, s3, 0
	v_mad_u64_u32 v[15:16], s[0:1], v18, s2, 0
	v_add_co_u32_e32 v0, vcc, v19, v0
	v_addc_co_u32_e32 v0, vcc, v20, v1, vcc
	v_addc_co_u32_e32 v1, vcc, 0, v16, vcc
	v_add_co_u32_e32 v0, vcc, v0, v15
	v_addc_co_u32_e32 v1, vcc, 0, v1, vcc
	v_mul_lo_u32 v15, s57, v0
	v_mul_lo_u32 v16, s56, v1
	v_mad_u64_u32 v[0:1], s[0:1], s56, v0, 0
	v_add3_u32 v1, v1, v16, v15
	v_sub_u32_e32 v15, v18, v1
	v_mov_b32_e32 v16, s57
	v_sub_co_u32_e32 v0, vcc, v17, v0
	v_subb_co_u32_e64 v15, s[0:1], v15, v16, vcc
	v_subrev_co_u32_e64 v17, s[0:1], s56, v0
	v_subbrev_co_u32_e64 v19, s[2:3], 0, v15, s[0:1]
	v_cmp_le_u32_e64 s[2:3], s57, v19
	v_cndmask_b32_e64 v20, 0, -1, s[2:3]
	v_cmp_le_u32_e64 s[2:3], s56, v17
	v_subb_co_u32_e64 v15, s[0:1], v15, v16, s[0:1]
	v_cndmask_b32_e64 v21, 0, -1, s[2:3]
	v_cmp_eq_u32_e64 s[2:3], s57, v19
	v_subrev_co_u32_e64 v16, s[0:1], s56, v17
	v_subb_co_u32_e32 v1, vcc, v18, v1, vcc
	v_cndmask_b32_e64 v20, v20, v21, s[2:3]
	v_subbrev_co_u32_e64 v15, s[0:1], 0, v15, s[0:1]
	v_cmp_le_u32_e32 vcc, s57, v1
	v_cmp_ne_u32_e64 s[0:1], 0, v20
	v_cndmask_b32_e64 v18, 0, -1, vcc
	v_cmp_le_u32_e32 vcc, s56, v0
	v_cndmask_b32_e64 v15, v19, v15, s[0:1]
	v_cndmask_b32_e64 v19, 0, -1, vcc
	v_cmp_eq_u32_e32 vcc, s57, v1
	v_cndmask_b32_e32 v18, v18, v19, vcc
	v_cmp_ne_u32_e32 vcc, 0, v18
	v_cndmask_b32_e32 v1, v1, v15, vcc
	v_cndmask_b32_e64 v15, v17, v16, s[0:1]
	v_cndmask_b32_e32 v0, v0, v15, vcc
	v_xor_b32_e32 v0, v0, v5
	v_xor_b32_e32 v1, v1, v5
	v_sub_co_u32_e32 v0, vcc, v0, v5
	v_subb_co_u32_e32 v1, vcc, v1, v5, vcc
.LBB2_14:                               ;   in Loop: Header=BB2_4 Depth=1
	s_andn2_saveexec_b64 s[0:1], s[4:5]
	s_cbranch_execz .LBB2_16
; %bb.15:                               ;   in Loop: Header=BB2_4 Depth=1
	v_cvt_f32_u32_e32 v0, s16
	s_sub_i32 s2, 0, s16
	v_rcp_iflag_f32_e32 v0, v0
	v_mul_f32_e32 v0, 0x4f7ffffe, v0
	v_cvt_u32_f32_e32 v0, v0
	v_mul_lo_u32 v1, s2, v0
	v_mul_hi_u32 v1, v0, v1
	v_add_u32_e32 v0, v0, v1
	v_mul_hi_u32 v0, v2, v0
	v_mul_lo_u32 v0, v0, s16
	v_sub_u32_e32 v0, v2, v0
	v_subrev_u32_e32 v1, s16, v0
	v_cmp_le_u32_e32 vcc, s16, v0
	v_cndmask_b32_e32 v0, v0, v1, vcc
	v_subrev_u32_e32 v1, s16, v0
	v_cmp_le_u32_e32 vcc, s16, v0
	v_cndmask_b32_e32 v0, v0, v1, vcc
	v_mov_b32_e32 v1, v4
.LBB2_16:                               ;   in Loop: Header=BB2_4 Depth=1
	s_or_b64 exec, exec, s[0:1]
	v_or_b32_e32 v5, s33, v11
	v_cmp_ne_u64_e32 vcc, 0, v[4:5]
                                        ; implicit-def: $vgpr18_vgpr19
	s_and_saveexec_b64 s[0:1], vcc
	s_xor_b64 s[2:3], exec, s[0:1]
	s_cbranch_execz .LBB2_18
; %bb.17:                               ;   in Loop: Header=BB2_4 Depth=1
	s_ashr_i32 s4, s33, 31
	s_add_u32 s0, s72, s4
	s_mov_b32 s5, s4
	s_addc_u32 s1, s33, s4
	s_xor_b64 s[56:57], s[0:1], s[4:5]
	v_cvt_f32_u32_e32 v5, s56
	v_cvt_f32_u32_e32 v15, s57
	s_sub_u32 s5, 0, s56
	s_subb_u32 s58, 0, s57
	v_mac_f32_e32 v5, 0x4f800000, v15
	v_rcp_f32_e32 v5, v5
	v_mul_f32_e32 v5, 0x5f7ffffc, v5
	v_mul_f32_e32 v15, 0x2f800000, v5
	v_trunc_f32_e32 v15, v15
	v_mac_f32_e32 v5, 0xcf800000, v15
	v_cvt_u32_f32_e32 v15, v15
	v_cvt_u32_f32_e32 v5, v5
	v_readfirstlane_b32 s59, v15
	v_readfirstlane_b32 s0, v5
	s_mul_i32 s1, s5, s59
	s_mul_hi_u32 s61, s5, s0
	s_mul_i32 s60, s58, s0
	s_add_i32 s1, s61, s1
	s_add_i32 s1, s1, s60
	s_mul_i32 s62, s5, s0
	s_mul_i32 s61, s0, s1
	s_mul_hi_u32 s63, s0, s62
	s_mul_hi_u32 s60, s0, s1
	s_add_u32 s61, s63, s61
	s_addc_u32 s60, 0, s60
	s_mul_hi_u32 s64, s59, s62
	s_mul_i32 s62, s59, s62
	s_add_u32 s61, s61, s62
	s_mul_hi_u32 s63, s59, s1
	s_addc_u32 s60, s60, s64
	s_addc_u32 s61, s63, 0
	s_mul_i32 s1, s59, s1
	s_add_u32 s1, s60, s1
	s_addc_u32 s60, 0, s61
	s_add_u32 s61, s0, s1
	s_cselect_b64 s[0:1], -1, 0
	s_cmp_lg_u64 s[0:1], 0
	s_addc_u32 s59, s59, s60
	s_mul_i32 s0, s5, s59
	s_mul_hi_u32 s1, s5, s61
	s_add_i32 s0, s1, s0
	s_mul_i32 s58, s58, s61
	s_add_i32 s0, s0, s58
	s_mul_i32 s5, s5, s61
	s_mul_hi_u32 s58, s59, s5
	s_mul_i32 s60, s59, s5
	s_mul_i32 s63, s61, s0
	s_mul_hi_u32 s5, s61, s5
	s_mul_hi_u32 s62, s61, s0
	s_add_u32 s5, s5, s63
	s_addc_u32 s62, 0, s62
	s_add_u32 s5, s5, s60
	s_mul_hi_u32 s1, s59, s0
	s_addc_u32 s5, s62, s58
	s_addc_u32 s1, s1, 0
	s_mul_i32 s0, s59, s0
	s_add_u32 s0, s5, s0
	s_addc_u32 s5, 0, s1
	s_add_u32 s58, s61, s0
	s_cselect_b64 s[0:1], -1, 0
	s_cmp_lg_u64 s[0:1], 0
	v_add_co_u32_e32 v5, vcc, v10, v14
	s_addc_u32 s5, s59, s5
	v_xor_b32_e32 v5, v5, v14
	v_mad_u64_u32 v[15:16], s[0:1], v5, s5, 0
	v_mul_hi_u32 v18, v5, s58
	v_addc_co_u32_e32 v17, vcc, v11, v14, vcc
	v_xor_b32_e32 v19, v17, v14
	v_add_co_u32_e32 v20, vcc, v18, v15
	v_addc_co_u32_e32 v21, vcc, 0, v16, vcc
	v_mad_u64_u32 v[15:16], s[0:1], v19, s58, 0
	v_mad_u64_u32 v[17:18], s[0:1], v19, s5, 0
	v_add_co_u32_e32 v15, vcc, v20, v15
	v_addc_co_u32_e32 v15, vcc, v21, v16, vcc
	v_addc_co_u32_e32 v16, vcc, 0, v18, vcc
	v_add_co_u32_e32 v17, vcc, v15, v17
	v_addc_co_u32_e32 v18, vcc, 0, v16, vcc
	v_mul_lo_u32 v20, s57, v17
	v_mul_lo_u32 v21, s56, v18
	v_mad_u64_u32 v[15:16], s[0:1], s56, v17, 0
	v_xor_b32_e32 v14, s4, v14
	v_add3_u32 v16, v16, v21, v20
	v_sub_u32_e32 v20, v19, v16
	v_mov_b32_e32 v21, s57
	v_sub_co_u32_e32 v5, vcc, v5, v15
	v_subb_co_u32_e64 v15, s[0:1], v20, v21, vcc
	v_subrev_co_u32_e64 v20, s[0:1], s56, v5
	v_subbrev_co_u32_e64 v15, s[0:1], 0, v15, s[0:1]
	v_cmp_le_u32_e64 s[0:1], s57, v15
	v_cndmask_b32_e64 v21, 0, -1, s[0:1]
	v_cmp_le_u32_e64 s[0:1], s56, v20
	v_cndmask_b32_e64 v20, 0, -1, s[0:1]
	v_cmp_eq_u32_e64 s[0:1], s57, v15
	v_cndmask_b32_e64 v15, v21, v20, s[0:1]
	v_add_co_u32_e64 v20, s[0:1], 2, v17
	v_subb_co_u32_e32 v16, vcc, v19, v16, vcc
	v_addc_co_u32_e64 v21, s[0:1], 0, v18, s[0:1]
	v_cmp_le_u32_e32 vcc, s57, v16
	v_add_co_u32_e64 v22, s[0:1], 1, v17
	v_cndmask_b32_e64 v19, 0, -1, vcc
	v_cmp_le_u32_e32 vcc, s56, v5
	v_addc_co_u32_e64 v23, s[0:1], 0, v18, s[0:1]
	v_cndmask_b32_e64 v5, 0, -1, vcc
	v_cmp_eq_u32_e32 vcc, s57, v16
	v_cmp_ne_u32_e64 s[0:1], 0, v15
	v_cndmask_b32_e32 v5, v19, v5, vcc
	v_cndmask_b32_e64 v15, v23, v21, s[0:1]
	v_cmp_ne_u32_e32 vcc, 0, v5
	v_cndmask_b32_e32 v5, v18, v15, vcc
	v_cndmask_b32_e64 v15, v22, v20, s[0:1]
	v_cndmask_b32_e32 v15, v17, v15, vcc
	v_xor_b32_e32 v15, v15, v14
	v_xor_b32_e32 v5, v5, v14
	v_sub_co_u32_e32 v18, vcc, v15, v14
	v_subb_co_u32_e32 v19, vcc, v5, v14, vcc
.LBB2_18:                               ;   in Loop: Header=BB2_4 Depth=1
	s_andn2_saveexec_b64 s[0:1], s[2:3]
	s_cbranch_execz .LBB2_20
; %bb.19:                               ;   in Loop: Header=BB2_4 Depth=1
	v_cvt_f32_u32_e32 v5, s72
	s_sub_i32 s2, 0, s72
	v_mov_b32_e32 v19, v4
	v_rcp_iflag_f32_e32 v5, v5
	v_mul_f32_e32 v5, 0x4f7ffffe, v5
	v_cvt_u32_f32_e32 v5, v5
	v_mul_lo_u32 v14, s2, v5
	v_mul_hi_u32 v14, v5, v14
	v_add_u32_e32 v5, v5, v14
	v_mul_hi_u32 v5, v10, v5
	v_mul_lo_u32 v14, v5, s72
	v_add_u32_e32 v15, 1, v5
	v_sub_u32_e32 v14, v10, v14
	v_subrev_u32_e32 v16, s72, v14
	v_cmp_le_u32_e32 vcc, s72, v14
	v_cndmask_b32_e32 v14, v14, v16, vcc
	v_cndmask_b32_e32 v5, v5, v15, vcc
	v_add_u32_e32 v15, 1, v5
	v_cmp_le_u32_e32 vcc, s72, v14
	v_cndmask_b32_e32 v18, v5, v15, vcc
.LBB2_20:                               ;   in Loop: Header=BB2_4 Depth=1
	s_or_b64 exec, exec, s[0:1]
	v_mul_lo_u32 v3, v3, s18
	v_mul_lo_u32 v5, v2, s19
	v_mad_u64_u32 v[20:21], s[0:1], v2, s18, 0
	v_mov_b32_e32 v14, 0
	v_mov_b32_e32 v15, 0
	v_add3_u32 v21, v21, v5, v3
	v_sub_co_u32_e32 v2, vcc, v10, v20
	v_subb_co_u32_e32 v3, vcc, v11, v21, vcc
	v_mov_b32_e32 v5, s39
	v_add_co_u32_e32 v2, vcc, s38, v2
	v_addc_co_u32_e32 v3, vcc, v3, v5, vcc
	v_cmp_lt_i64_e32 vcc, s[14:15], v[2:3]
	s_and_saveexec_b64 s[2:3], vcc
	s_cbranch_execz .LBB2_26
; %bb.21:                               ;   in Loop: Header=BB2_4 Depth=1
	v_mov_b32_e32 v5, s35
	v_add_co_u32_e32 v16, vcc, s34, v2
	v_addc_co_u32_e32 v17, vcc, v3, v5, vcc
	v_or_b32_e32 v5, s43, v17
	v_cmp_ne_u64_e32 vcc, 0, v[4:5]
                                        ; implicit-def: $vgpr14_vgpr15
	s_and_saveexec_b64 s[0:1], vcc
	s_xor_b64 s[4:5], exec, s[0:1]
	s_cbranch_execz .LBB2_23
; %bb.22:                               ;   in Loop: Header=BB2_4 Depth=1
	s_ashr_i32 s56, s43, 31
	s_add_u32 s0, s42, s56
	s_mov_b32 s57, s56
	s_addc_u32 s1, s43, s56
	s_xor_b64 s[58:59], s[0:1], s[56:57]
	v_cvt_f32_u32_e32 v5, s58
	v_cvt_f32_u32_e32 v14, s59
	s_sub_u32 s57, 0, s58
	s_subb_u32 s60, 0, s59
	v_mac_f32_e32 v5, 0x4f800000, v14
	v_rcp_f32_e32 v5, v5
	v_mul_f32_e32 v5, 0x5f7ffffc, v5
	v_mul_f32_e32 v14, 0x2f800000, v5
	v_trunc_f32_e32 v14, v14
	v_mac_f32_e32 v5, 0xcf800000, v14
	v_cvt_u32_f32_e32 v14, v14
	v_cvt_u32_f32_e32 v5, v5
	v_readfirstlane_b32 s61, v14
	v_readfirstlane_b32 s0, v5
	s_mul_i32 s1, s57, s61
	s_mul_hi_u32 s63, s57, s0
	s_mul_i32 s62, s60, s0
	s_add_i32 s1, s63, s1
	s_add_i32 s1, s1, s62
	s_mul_i32 s64, s57, s0
	s_mul_i32 s63, s0, s1
	s_mul_hi_u32 s65, s0, s64
	s_mul_hi_u32 s62, s0, s1
	s_add_u32 s63, s65, s63
	s_addc_u32 s62, 0, s62
	s_mul_hi_u32 s66, s61, s64
	s_mul_i32 s64, s61, s64
	s_add_u32 s63, s63, s64
	s_mul_hi_u32 s65, s61, s1
	s_addc_u32 s62, s62, s66
	s_addc_u32 s63, s65, 0
	s_mul_i32 s1, s61, s1
	s_add_u32 s1, s62, s1
	s_addc_u32 s62, 0, s63
	s_add_u32 s63, s0, s1
	s_cselect_b64 s[0:1], -1, 0
	s_cmp_lg_u64 s[0:1], 0
	s_addc_u32 s61, s61, s62
	s_mul_i32 s0, s57, s61
	s_mul_hi_u32 s1, s57, s63
	s_add_i32 s0, s1, s0
	s_mul_i32 s60, s60, s63
	s_add_i32 s0, s0, s60
	s_mul_i32 s57, s57, s63
	s_mul_hi_u32 s60, s61, s57
	s_mul_i32 s62, s61, s57
	s_mul_i32 s65, s63, s0
	s_mul_hi_u32 s57, s63, s57
	s_mul_hi_u32 s64, s63, s0
	s_add_u32 s57, s57, s65
	s_addc_u32 s64, 0, s64
	s_add_u32 s57, s57, s62
	s_mul_hi_u32 s1, s61, s0
	s_addc_u32 s57, s64, s60
	s_addc_u32 s1, s1, 0
	s_mul_i32 s0, s61, s0
	s_add_u32 s0, s57, s0
	s_addc_u32 s57, 0, s1
	s_add_u32 s60, s63, s0
	s_cselect_b64 s[0:1], -1, 0
	v_ashrrev_i32_e32 v5, 31, v17
	s_cmp_lg_u64 s[0:1], 0
	v_add_co_u32_e32 v14, vcc, v16, v5
	s_addc_u32 s57, s61, s57
	v_xor_b32_e32 v22, v14, v5
	v_addc_co_u32_e32 v16, vcc, v17, v5, vcc
	v_mad_u64_u32 v[14:15], s[0:1], v22, s57, 0
	v_mul_hi_u32 v17, v22, s60
	v_xor_b32_e32 v23, v16, v5
	v_xor_b32_e32 v5, s56, v5
	v_add_co_u32_e32 v24, vcc, v17, v14
	v_addc_co_u32_e32 v25, vcc, 0, v15, vcc
	v_mad_u64_u32 v[14:15], s[0:1], v23, s60, 0
	v_mad_u64_u32 v[16:17], s[0:1], v23, s57, 0
	v_add_co_u32_e32 v14, vcc, v24, v14
	v_addc_co_u32_e32 v14, vcc, v25, v15, vcc
	v_addc_co_u32_e32 v15, vcc, 0, v17, vcc
	v_add_co_u32_e32 v16, vcc, v14, v16
	v_addc_co_u32_e32 v17, vcc, 0, v15, vcc
	v_mul_lo_u32 v24, s59, v16
	v_mul_lo_u32 v25, s58, v17
	v_mad_u64_u32 v[14:15], s[0:1], s58, v16, 0
	v_add3_u32 v15, v15, v25, v24
	v_sub_u32_e32 v24, v23, v15
	v_mov_b32_e32 v25, s59
	v_sub_co_u32_e32 v14, vcc, v22, v14
	v_subb_co_u32_e64 v22, s[0:1], v24, v25, vcc
	v_subrev_co_u32_e64 v24, s[0:1], s58, v14
	v_subbrev_co_u32_e64 v22, s[0:1], 0, v22, s[0:1]
	v_cmp_le_u32_e64 s[0:1], s59, v22
	v_cndmask_b32_e64 v25, 0, -1, s[0:1]
	v_cmp_le_u32_e64 s[0:1], s58, v24
	v_cndmask_b32_e64 v24, 0, -1, s[0:1]
	v_cmp_eq_u32_e64 s[0:1], s59, v22
	v_cndmask_b32_e64 v22, v25, v24, s[0:1]
	v_add_co_u32_e64 v24, s[0:1], 2, v16
	v_subb_co_u32_e32 v15, vcc, v23, v15, vcc
	v_addc_co_u32_e64 v25, s[0:1], 0, v17, s[0:1]
	v_cmp_le_u32_e32 vcc, s59, v15
	v_add_co_u32_e64 v26, s[0:1], 1, v16
	v_cndmask_b32_e64 v23, 0, -1, vcc
	v_cmp_le_u32_e32 vcc, s58, v14
	v_addc_co_u32_e64 v27, s[0:1], 0, v17, s[0:1]
	v_cndmask_b32_e64 v14, 0, -1, vcc
	v_cmp_eq_u32_e32 vcc, s59, v15
	v_cmp_ne_u32_e64 s[0:1], 0, v22
	v_cndmask_b32_e32 v14, v23, v14, vcc
	v_cndmask_b32_e64 v22, v27, v25, s[0:1]
	v_cmp_ne_u32_e32 vcc, 0, v14
	v_cndmask_b32_e64 v15, v26, v24, s[0:1]
	v_cndmask_b32_e32 v14, v17, v22, vcc
	v_cndmask_b32_e32 v15, v16, v15, vcc
	v_xor_b32_e32 v16, v14, v5
	v_xor_b32_e32 v14, v15, v5
	v_sub_co_u32_e32 v14, vcc, v14, v5
	v_subb_co_u32_e32 v15, vcc, v16, v5, vcc
                                        ; implicit-def: $vgpr16
.LBB2_23:                               ;   in Loop: Header=BB2_4 Depth=1
	s_andn2_saveexec_b64 s[0:1], s[4:5]
	s_cbranch_execz .LBB2_25
; %bb.24:                               ;   in Loop: Header=BB2_4 Depth=1
	v_cvt_f32_u32_e32 v5, s42
	s_sub_i32 s4, 0, s42
	v_rcp_iflag_f32_e32 v5, v5
	v_mul_f32_e32 v5, 0x4f7ffffe, v5
	v_cvt_u32_f32_e32 v5, v5
	v_mul_lo_u32 v14, s4, v5
	v_mul_hi_u32 v14, v5, v14
	v_add_u32_e32 v5, v5, v14
	v_mul_hi_u32 v5, v16, v5
	v_mul_lo_u32 v14, v5, s42
	v_add_u32_e32 v15, 1, v5
	v_sub_u32_e32 v14, v16, v14
	v_subrev_u32_e32 v16, s42, v14
	v_cmp_le_u32_e32 vcc, s42, v14
	v_cndmask_b32_e32 v14, v14, v16, vcc
	v_cndmask_b32_e32 v5, v5, v15, vcc
	v_add_u32_e32 v15, 1, v5
	v_cmp_le_u32_e32 vcc, s42, v14
	v_cndmask_b32_e32 v14, v5, v15, vcc
	v_mov_b32_e32 v15, v4
.LBB2_25:                               ;   in Loop: Header=BB2_4 Depth=1
	s_or_b64 exec, exec, s[0:1]
	v_add_co_u32_e32 v14, vcc, 1, v14
	v_addc_co_u32_e32 v15, vcc, 0, v15, vcc
.LBB2_26:                               ;   in Loop: Header=BB2_4 Depth=1
	s_or_b64 exec, exec, s[2:3]
	v_or_b32_e32 v5, s43, v3
	v_cmp_ne_u64_e32 vcc, 0, v[4:5]
                                        ; implicit-def: $vgpr26_vgpr27
	s_and_saveexec_b64 s[0:1], vcc
	s_xor_b64 s[2:3], exec, s[0:1]
	s_cbranch_execz .LBB2_28
; %bb.27:                               ;   in Loop: Header=BB2_4 Depth=1
	s_ashr_i32 s4, s43, 31
	s_add_u32 s0, s42, s4
	s_mov_b32 s5, s4
	s_addc_u32 s1, s43, s4
	s_xor_b64 s[56:57], s[0:1], s[4:5]
	v_cvt_f32_u32_e32 v5, s56
	v_cvt_f32_u32_e32 v16, s57
	s_sub_u32 s5, 0, s56
	s_subb_u32 s58, 0, s57
	v_mac_f32_e32 v5, 0x4f800000, v16
	v_rcp_f32_e32 v5, v5
	v_mul_f32_e32 v5, 0x5f7ffffc, v5
	v_mul_f32_e32 v16, 0x2f800000, v5
	v_trunc_f32_e32 v16, v16
	v_mac_f32_e32 v5, 0xcf800000, v16
	v_cvt_u32_f32_e32 v16, v16
	v_cvt_u32_f32_e32 v5, v5
	v_readfirstlane_b32 s59, v16
	v_readfirstlane_b32 s0, v5
	s_mul_i32 s1, s5, s59
	s_mul_hi_u32 s61, s5, s0
	s_mul_i32 s60, s58, s0
	s_add_i32 s1, s61, s1
	s_add_i32 s1, s1, s60
	s_mul_i32 s62, s5, s0
	s_mul_i32 s61, s0, s1
	s_mul_hi_u32 s63, s0, s62
	s_mul_hi_u32 s60, s0, s1
	s_add_u32 s61, s63, s61
	s_addc_u32 s60, 0, s60
	s_mul_hi_u32 s64, s59, s62
	s_mul_i32 s62, s59, s62
	s_add_u32 s61, s61, s62
	s_mul_hi_u32 s63, s59, s1
	s_addc_u32 s60, s60, s64
	s_addc_u32 s61, s63, 0
	s_mul_i32 s1, s59, s1
	s_add_u32 s1, s60, s1
	s_addc_u32 s60, 0, s61
	s_add_u32 s61, s0, s1
	s_cselect_b64 s[0:1], -1, 0
	s_cmp_lg_u64 s[0:1], 0
	s_addc_u32 s59, s59, s60
	s_mul_i32 s0, s5, s59
	s_mul_hi_u32 s1, s5, s61
	s_add_i32 s0, s1, s0
	s_mul_i32 s58, s58, s61
	s_add_i32 s0, s0, s58
	s_mul_i32 s5, s5, s61
	s_mul_hi_u32 s58, s59, s5
	s_mul_i32 s60, s59, s5
	s_mul_i32 s63, s61, s0
	s_mul_hi_u32 s5, s61, s5
	s_mul_hi_u32 s62, s61, s0
	s_add_u32 s5, s5, s63
	s_addc_u32 s62, 0, s62
	s_add_u32 s5, s5, s60
	s_mul_hi_u32 s1, s59, s0
	s_addc_u32 s5, s62, s58
	s_addc_u32 s1, s1, 0
	s_mul_i32 s0, s59, s0
	s_add_u32 s0, s5, s0
	s_addc_u32 s5, 0, s1
	s_add_u32 s58, s61, s0
	s_cselect_b64 s[0:1], -1, 0
	v_ashrrev_i32_e32 v5, 31, v3
	s_cmp_lg_u64 s[0:1], 0
	v_add_co_u32_e32 v2, vcc, v2, v5
	s_addc_u32 s5, s59, s5
	v_xor_b32_e32 v22, v2, v5
	v_addc_co_u32_e32 v16, vcc, v3, v5, vcc
	v_mad_u64_u32 v[2:3], s[0:1], v22, s5, 0
	v_mul_hi_u32 v17, v22, s58
	v_xor_b32_e32 v23, v16, v5
	v_xor_b32_e32 v5, s4, v5
	v_add_co_u32_e32 v24, vcc, v17, v2
	v_addc_co_u32_e32 v25, vcc, 0, v3, vcc
	v_mad_u64_u32 v[2:3], s[0:1], v23, s58, 0
	v_mad_u64_u32 v[16:17], s[0:1], v23, s5, 0
	v_add_co_u32_e32 v2, vcc, v24, v2
	v_addc_co_u32_e32 v2, vcc, v25, v3, vcc
	v_addc_co_u32_e32 v3, vcc, 0, v17, vcc
	v_add_co_u32_e32 v16, vcc, v2, v16
	v_addc_co_u32_e32 v17, vcc, 0, v3, vcc
	v_mul_lo_u32 v24, s57, v16
	v_mul_lo_u32 v25, s56, v17
	v_mad_u64_u32 v[2:3], s[0:1], s56, v16, 0
	v_add3_u32 v3, v3, v25, v24
	v_sub_u32_e32 v24, v23, v3
	v_mov_b32_e32 v25, s57
	v_sub_co_u32_e32 v2, vcc, v22, v2
	v_subb_co_u32_e64 v22, s[0:1], v24, v25, vcc
	v_subrev_co_u32_e64 v24, s[0:1], s56, v2
	v_subbrev_co_u32_e64 v22, s[0:1], 0, v22, s[0:1]
	v_cmp_le_u32_e64 s[0:1], s57, v22
	v_cndmask_b32_e64 v25, 0, -1, s[0:1]
	v_cmp_le_u32_e64 s[0:1], s56, v24
	v_cndmask_b32_e64 v24, 0, -1, s[0:1]
	v_cmp_eq_u32_e64 s[0:1], s57, v22
	v_cndmask_b32_e64 v22, v25, v24, s[0:1]
	v_add_co_u32_e64 v24, s[0:1], 2, v16
	v_subb_co_u32_e32 v3, vcc, v23, v3, vcc
	v_addc_co_u32_e64 v25, s[0:1], 0, v17, s[0:1]
	v_cmp_le_u32_e32 vcc, s57, v3
	v_add_co_u32_e64 v26, s[0:1], 1, v16
	v_cndmask_b32_e64 v23, 0, -1, vcc
	v_cmp_le_u32_e32 vcc, s56, v2
	v_addc_co_u32_e64 v27, s[0:1], 0, v17, s[0:1]
	v_cndmask_b32_e64 v2, 0, -1, vcc
	v_cmp_eq_u32_e32 vcc, s57, v3
	v_cmp_ne_u32_e64 s[0:1], 0, v22
	v_cndmask_b32_e32 v2, v23, v2, vcc
	v_cmp_ne_u32_e32 vcc, 0, v2
	v_cndmask_b32_e64 v3, v26, v24, s[0:1]
	v_cndmask_b32_e64 v22, v27, v25, s[0:1]
	v_cndmask_b32_e32 v3, v16, v3, vcc
	v_cndmask_b32_e32 v2, v17, v22, vcc
	v_xor_b32_e32 v3, v3, v5
	v_xor_b32_e32 v2, v2, v5
	v_sub_co_u32_e32 v26, vcc, v3, v5
	v_subb_co_u32_e32 v27, vcc, v2, v5, vcc
                                        ; implicit-def: $vgpr2
.LBB2_28:                               ;   in Loop: Header=BB2_4 Depth=1
	s_andn2_saveexec_b64 s[0:1], s[2:3]
	s_cbranch_execz .LBB2_30
; %bb.29:                               ;   in Loop: Header=BB2_4 Depth=1
	v_cvt_f32_u32_e32 v3, s42
	s_sub_i32 s2, 0, s42
	v_mov_b32_e32 v27, v4
	v_rcp_iflag_f32_e32 v3, v3
	v_mul_f32_e32 v3, 0x4f7ffffe, v3
	v_cvt_u32_f32_e32 v3, v3
	v_mul_lo_u32 v5, s2, v3
	v_mul_hi_u32 v5, v3, v5
	v_add_u32_e32 v3, v3, v5
	v_mul_hi_u32 v3, v2, v3
	v_mul_lo_u32 v5, v3, s42
	v_add_u32_e32 v16, 1, v3
	v_sub_u32_e32 v2, v2, v5
	v_subrev_u32_e32 v5, s42, v2
	v_cmp_le_u32_e32 vcc, s42, v2
	v_cndmask_b32_e32 v2, v2, v5, vcc
	v_cndmask_b32_e32 v3, v3, v16, vcc
	v_add_u32_e32 v5, 1, v3
	v_cmp_le_u32_e32 vcc, s42, v2
	v_cndmask_b32_e32 v26, v3, v5, vcc
.LBB2_30:                               ;   in Loop: Header=BB2_4 Depth=1
	s_or_b64 exec, exec, s[0:1]
	v_mov_b32_e32 v2, s37
	v_add_co_u32_e32 v16, vcc, s36, v0
	v_addc_co_u32_e32 v17, vcc, v1, v2, vcc
	v_cmp_lt_i64_e32 vcc, s[28:29], v[16:17]
	v_mov_b32_e32 v22, 0
	v_mov_b32_e32 v23, 0
	s_and_saveexec_b64 s[2:3], vcc
	s_cbranch_execz .LBB2_36
; %bb.31:                               ;   in Loop: Header=BB2_4 Depth=1
	v_mov_b32_e32 v0, s31
	v_add_co_u32_e32 v2, vcc, s30, v16
	v_addc_co_u32_e32 v3, vcc, v17, v0, vcc
	v_or_b32_e32 v5, s41, v3
	v_cmp_ne_u64_e32 vcc, 0, v[4:5]
                                        ; implicit-def: $vgpr0_vgpr1
	s_and_saveexec_b64 s[0:1], vcc
	s_xor_b64 s[4:5], exec, s[0:1]
	s_cbranch_execz .LBB2_33
; %bb.32:                               ;   in Loop: Header=BB2_4 Depth=1
	s_ashr_i32 s56, s41, 31
	s_add_u32 s0, s40, s56
	s_mov_b32 s57, s56
	s_addc_u32 s1, s41, s56
	s_xor_b64 s[58:59], s[0:1], s[56:57]
	v_cvt_f32_u32_e32 v0, s58
	v_cvt_f32_u32_e32 v1, s59
	s_sub_u32 s57, 0, s58
	s_subb_u32 s60, 0, s59
	v_ashrrev_i32_e32 v5, 31, v3
	v_mac_f32_e32 v0, 0x4f800000, v1
	v_rcp_f32_e32 v0, v0
	v_mul_f32_e32 v0, 0x5f7ffffc, v0
	v_mul_f32_e32 v1, 0x2f800000, v0
	v_trunc_f32_e32 v1, v1
	v_mac_f32_e32 v0, 0xcf800000, v1
	v_cvt_u32_f32_e32 v1, v1
	v_cvt_u32_f32_e32 v0, v0
	v_readfirstlane_b32 s61, v1
	v_readfirstlane_b32 s0, v0
	s_mul_i32 s1, s57, s61
	s_mul_hi_u32 s63, s57, s0
	s_mul_i32 s62, s60, s0
	s_add_i32 s1, s63, s1
	s_add_i32 s1, s1, s62
	s_mul_i32 s64, s57, s0
	s_mul_i32 s63, s0, s1
	s_mul_hi_u32 s65, s0, s64
	s_mul_hi_u32 s62, s0, s1
	s_add_u32 s63, s65, s63
	s_addc_u32 s62, 0, s62
	s_mul_hi_u32 s66, s61, s64
	s_mul_i32 s64, s61, s64
	s_add_u32 s63, s63, s64
	s_mul_hi_u32 s65, s61, s1
	s_addc_u32 s62, s62, s66
	s_addc_u32 s63, s65, 0
	s_mul_i32 s1, s61, s1
	s_add_u32 s1, s62, s1
	s_addc_u32 s62, 0, s63
	s_add_u32 s63, s0, s1
	s_cselect_b64 s[0:1], -1, 0
	s_cmp_lg_u64 s[0:1], 0
	s_addc_u32 s61, s61, s62
	s_mul_i32 s0, s57, s61
	s_mul_hi_u32 s1, s57, s63
	s_add_i32 s0, s1, s0
	s_mul_i32 s60, s60, s63
	s_add_i32 s0, s0, s60
	s_mul_i32 s57, s57, s63
	s_mul_hi_u32 s60, s61, s57
	s_mul_i32 s62, s61, s57
	s_mul_i32 s65, s63, s0
	s_mul_hi_u32 s57, s63, s57
	s_mul_hi_u32 s64, s63, s0
	s_add_u32 s57, s57, s65
	s_addc_u32 s64, 0, s64
	s_add_u32 s57, s57, s62
	s_mul_hi_u32 s1, s61, s0
	s_addc_u32 s57, s64, s60
	s_addc_u32 s1, s1, 0
	s_mul_i32 s0, s61, s0
	s_add_u32 s0, s57, s0
	s_addc_u32 s57, 0, s1
	s_add_u32 s60, s63, s0
	s_cselect_b64 s[0:1], -1, 0
	s_cmp_lg_u64 s[0:1], 0
	v_add_co_u32_e32 v0, vcc, v2, v5
	s_addc_u32 s57, s61, s57
	v_xor_b32_e32 v22, v0, v5
	v_addc_co_u32_e32 v2, vcc, v3, v5, vcc
	v_mad_u64_u32 v[0:1], s[0:1], v22, s57, 0
	v_mul_hi_u32 v3, v22, s60
	v_xor_b32_e32 v23, v2, v5
	v_add_co_u32_e32 v24, vcc, v3, v0
	v_addc_co_u32_e32 v25, vcc, 0, v1, vcc
	v_mad_u64_u32 v[0:1], s[0:1], v23, s60, 0
	v_mad_u64_u32 v[2:3], s[0:1], v23, s57, 0
	v_add_co_u32_e32 v0, vcc, v24, v0
	v_addc_co_u32_e32 v0, vcc, v25, v1, vcc
	v_addc_co_u32_e32 v1, vcc, 0, v3, vcc
	v_add_co_u32_e32 v2, vcc, v0, v2
	v_addc_co_u32_e32 v3, vcc, 0, v1, vcc
	v_mul_lo_u32 v24, s59, v2
	v_mul_lo_u32 v25, s58, v3
	v_mad_u64_u32 v[0:1], s[0:1], s58, v2, 0
	v_add3_u32 v1, v1, v25, v24
	v_sub_u32_e32 v24, v23, v1
	v_mov_b32_e32 v25, s59
	v_sub_co_u32_e32 v0, vcc, v22, v0
	v_subb_co_u32_e64 v22, s[0:1], v24, v25, vcc
	v_subrev_co_u32_e64 v24, s[0:1], s58, v0
	v_subbrev_co_u32_e64 v22, s[0:1], 0, v22, s[0:1]
	v_cmp_le_u32_e64 s[0:1], s59, v22
	v_cndmask_b32_e64 v25, 0, -1, s[0:1]
	v_cmp_le_u32_e64 s[0:1], s58, v24
	v_cndmask_b32_e64 v24, 0, -1, s[0:1]
	v_cmp_eq_u32_e64 s[0:1], s59, v22
	v_cndmask_b32_e64 v22, v25, v24, s[0:1]
	v_add_co_u32_e64 v24, s[0:1], 2, v2
	v_subb_co_u32_e32 v1, vcc, v23, v1, vcc
	v_addc_co_u32_e64 v25, s[0:1], 0, v3, s[0:1]
	v_cmp_le_u32_e32 vcc, s59, v1
	v_add_co_u32_e64 v28, s[0:1], 1, v2
	v_cndmask_b32_e64 v23, 0, -1, vcc
	v_cmp_le_u32_e32 vcc, s58, v0
	v_addc_co_u32_e64 v29, s[0:1], 0, v3, s[0:1]
	v_cndmask_b32_e64 v0, 0, -1, vcc
	v_cmp_eq_u32_e32 vcc, s59, v1
	v_cmp_ne_u32_e64 s[0:1], 0, v22
	v_cndmask_b32_e32 v0, v23, v0, vcc
	v_cndmask_b32_e64 v22, v29, v25, s[0:1]
	v_cmp_ne_u32_e32 vcc, 0, v0
	v_cndmask_b32_e64 v1, v28, v24, s[0:1]
	v_cndmask_b32_e32 v0, v3, v22, vcc
	v_cndmask_b32_e32 v1, v2, v1, vcc
	v_xor_b32_e32 v2, s56, v5
	v_xor_b32_e32 v3, v0, v2
	;; [unrolled: 1-line block ×3, first 2 shown]
	v_sub_co_u32_e32 v0, vcc, v0, v2
	v_subb_co_u32_e32 v1, vcc, v3, v2, vcc
                                        ; implicit-def: $vgpr2
.LBB2_33:                               ;   in Loop: Header=BB2_4 Depth=1
	s_andn2_saveexec_b64 s[0:1], s[4:5]
	s_cbranch_execz .LBB2_35
; %bb.34:                               ;   in Loop: Header=BB2_4 Depth=1
	v_cvt_f32_u32_e32 v0, s40
	s_sub_i32 s4, 0, s40
	v_rcp_iflag_f32_e32 v0, v0
	v_mul_f32_e32 v0, 0x4f7ffffe, v0
	v_cvt_u32_f32_e32 v0, v0
	v_mul_lo_u32 v1, s4, v0
	v_mul_hi_u32 v1, v0, v1
	v_add_u32_e32 v0, v0, v1
	v_mul_hi_u32 v0, v2, v0
	v_mul_lo_u32 v1, v0, s40
	v_add_u32_e32 v3, 1, v0
	v_sub_u32_e32 v1, v2, v1
	v_subrev_u32_e32 v2, s40, v1
	v_cmp_le_u32_e32 vcc, s40, v1
	v_cndmask_b32_e32 v1, v1, v2, vcc
	v_cndmask_b32_e32 v0, v0, v3, vcc
	v_add_u32_e32 v2, 1, v0
	v_cmp_le_u32_e32 vcc, s40, v1
	v_cndmask_b32_e32 v0, v0, v2, vcc
	v_mov_b32_e32 v1, v4
.LBB2_35:                               ;   in Loop: Header=BB2_4 Depth=1
	s_or_b64 exec, exec, s[0:1]
	v_add_co_u32_e32 v22, vcc, 1, v0
	v_addc_co_u32_e32 v23, vcc, 0, v1, vcc
.LBB2_36:                               ;   in Loop: Header=BB2_4 Depth=1
	s_or_b64 exec, exec, s[2:3]
	v_or_b32_e32 v5, s41, v17
	v_cmp_ne_u64_e32 vcc, 0, v[4:5]
                                        ; implicit-def: $vgpr0_vgpr1
	s_and_saveexec_b64 s[0:1], vcc
	s_xor_b64 s[2:3], exec, s[0:1]
	s_cbranch_execz .LBB2_38
; %bb.37:                               ;   in Loop: Header=BB2_4 Depth=1
	s_ashr_i32 s4, s41, 31
	s_add_u32 s0, s40, s4
	s_mov_b32 s5, s4
	s_addc_u32 s1, s41, s4
	s_xor_b64 s[56:57], s[0:1], s[4:5]
	v_cvt_f32_u32_e32 v0, s56
	v_cvt_f32_u32_e32 v1, s57
	s_sub_u32 s5, 0, s56
	s_subb_u32 s58, 0, s57
	v_ashrrev_i32_e32 v5, 31, v17
	v_mac_f32_e32 v0, 0x4f800000, v1
	v_rcp_f32_e32 v0, v0
	v_mul_f32_e32 v0, 0x5f7ffffc, v0
	v_mul_f32_e32 v1, 0x2f800000, v0
	v_trunc_f32_e32 v1, v1
	v_mac_f32_e32 v0, 0xcf800000, v1
	v_cvt_u32_f32_e32 v1, v1
	v_cvt_u32_f32_e32 v0, v0
	v_readfirstlane_b32 s59, v1
	v_readfirstlane_b32 s0, v0
	s_mul_i32 s1, s5, s59
	s_mul_hi_u32 s61, s5, s0
	s_mul_i32 s60, s58, s0
	s_add_i32 s1, s61, s1
	s_add_i32 s1, s1, s60
	s_mul_i32 s62, s5, s0
	s_mul_i32 s61, s0, s1
	s_mul_hi_u32 s63, s0, s62
	s_mul_hi_u32 s60, s0, s1
	s_add_u32 s61, s63, s61
	s_addc_u32 s60, 0, s60
	s_mul_hi_u32 s64, s59, s62
	s_mul_i32 s62, s59, s62
	s_add_u32 s61, s61, s62
	s_mul_hi_u32 s63, s59, s1
	s_addc_u32 s60, s60, s64
	s_addc_u32 s61, s63, 0
	s_mul_i32 s1, s59, s1
	s_add_u32 s1, s60, s1
	s_addc_u32 s60, 0, s61
	s_add_u32 s61, s0, s1
	s_cselect_b64 s[0:1], -1, 0
	s_cmp_lg_u64 s[0:1], 0
	s_addc_u32 s59, s59, s60
	s_mul_i32 s0, s5, s59
	s_mul_hi_u32 s1, s5, s61
	s_add_i32 s0, s1, s0
	s_mul_i32 s58, s58, s61
	s_add_i32 s0, s0, s58
	s_mul_i32 s5, s5, s61
	s_mul_hi_u32 s58, s59, s5
	s_mul_i32 s60, s59, s5
	s_mul_i32 s63, s61, s0
	s_mul_hi_u32 s5, s61, s5
	s_mul_hi_u32 s62, s61, s0
	s_add_u32 s5, s5, s63
	s_addc_u32 s62, 0, s62
	s_add_u32 s5, s5, s60
	s_mul_hi_u32 s1, s59, s0
	s_addc_u32 s5, s62, s58
	s_addc_u32 s1, s1, 0
	s_mul_i32 s0, s59, s0
	s_add_u32 s0, s5, s0
	s_addc_u32 s5, 0, s1
	s_add_u32 s58, s61, s0
	s_cselect_b64 s[0:1], -1, 0
	s_cmp_lg_u64 s[0:1], 0
	v_add_co_u32_e32 v0, vcc, v16, v5
	s_addc_u32 s5, s59, s5
	v_xor_b32_e32 v24, v0, v5
	v_mad_u64_u32 v[0:1], s[0:1], v24, s5, 0
	v_mul_hi_u32 v3, v24, s58
	v_addc_co_u32_e32 v2, vcc, v17, v5, vcc
	v_xor_b32_e32 v25, v2, v5
	v_add_co_u32_e32 v28, vcc, v3, v0
	v_addc_co_u32_e32 v29, vcc, 0, v1, vcc
	v_mad_u64_u32 v[0:1], s[0:1], v25, s58, 0
	v_mad_u64_u32 v[2:3], s[0:1], v25, s5, 0
	v_add_co_u32_e32 v0, vcc, v28, v0
	v_addc_co_u32_e32 v0, vcc, v29, v1, vcc
	v_addc_co_u32_e32 v1, vcc, 0, v3, vcc
	v_add_co_u32_e32 v2, vcc, v0, v2
	v_addc_co_u32_e32 v3, vcc, 0, v1, vcc
	v_mul_lo_u32 v28, s57, v2
	v_mul_lo_u32 v29, s56, v3
	v_mad_u64_u32 v[0:1], s[0:1], s56, v2, 0
	v_add3_u32 v1, v1, v29, v28
	v_sub_u32_e32 v28, v25, v1
	v_mov_b32_e32 v29, s57
	v_sub_co_u32_e32 v0, vcc, v24, v0
	v_subb_co_u32_e64 v24, s[0:1], v28, v29, vcc
	v_subrev_co_u32_e64 v28, s[0:1], s56, v0
	v_subbrev_co_u32_e64 v24, s[0:1], 0, v24, s[0:1]
	v_cmp_le_u32_e64 s[0:1], s57, v24
	v_cndmask_b32_e64 v29, 0, -1, s[0:1]
	v_cmp_le_u32_e64 s[0:1], s56, v28
	v_cndmask_b32_e64 v28, 0, -1, s[0:1]
	v_cmp_eq_u32_e64 s[0:1], s57, v24
	v_cndmask_b32_e64 v24, v29, v28, s[0:1]
	v_add_co_u32_e64 v28, s[0:1], 2, v2
	v_subb_co_u32_e32 v1, vcc, v25, v1, vcc
	v_addc_co_u32_e64 v29, s[0:1], 0, v3, s[0:1]
	v_cmp_le_u32_e32 vcc, s57, v1
	v_add_co_u32_e64 v30, s[0:1], 1, v2
	v_cndmask_b32_e64 v25, 0, -1, vcc
	v_cmp_le_u32_e32 vcc, s56, v0
	v_addc_co_u32_e64 v31, s[0:1], 0, v3, s[0:1]
	v_cndmask_b32_e64 v0, 0, -1, vcc
	v_cmp_eq_u32_e32 vcc, s57, v1
	v_cmp_ne_u32_e64 s[0:1], 0, v24
	v_cndmask_b32_e32 v0, v25, v0, vcc
	v_cndmask_b32_e64 v24, v31, v29, s[0:1]
	v_cmp_ne_u32_e32 vcc, 0, v0
	v_cndmask_b32_e64 v1, v30, v28, s[0:1]
	v_cndmask_b32_e32 v0, v3, v24, vcc
	v_cndmask_b32_e32 v1, v2, v1, vcc
	v_xor_b32_e32 v2, s4, v5
	v_xor_b32_e32 v3, v0, v2
	;; [unrolled: 1-line block ×3, first 2 shown]
	v_sub_co_u32_e32 v0, vcc, v0, v2
	v_subb_co_u32_e32 v1, vcc, v3, v2, vcc
.LBB2_38:                               ;   in Loop: Header=BB2_4 Depth=1
	s_andn2_saveexec_b64 s[0:1], s[2:3]
	s_cbranch_execz .LBB2_40
; %bb.39:                               ;   in Loop: Header=BB2_4 Depth=1
	v_cvt_f32_u32_e32 v0, s40
	s_sub_i32 s2, 0, s40
	v_rcp_iflag_f32_e32 v0, v0
	v_mul_f32_e32 v0, 0x4f7ffffe, v0
	v_cvt_u32_f32_e32 v0, v0
	v_mul_lo_u32 v1, s2, v0
	v_mul_hi_u32 v1, v0, v1
	v_add_u32_e32 v0, v0, v1
	v_mul_hi_u32 v0, v16, v0
	v_mul_lo_u32 v1, v0, s40
	v_add_u32_e32 v2, 1, v0
	v_sub_u32_e32 v1, v16, v1
	v_subrev_u32_e32 v3, s40, v1
	v_cmp_le_u32_e32 vcc, s40, v1
	v_cndmask_b32_e32 v1, v1, v3, vcc
	v_cndmask_b32_e32 v0, v0, v2, vcc
	v_add_u32_e32 v2, 1, v0
	v_cmp_le_u32_e32 vcc, s40, v1
	v_cndmask_b32_e32 v0, v0, v2, vcc
	v_mov_b32_e32 v1, v4
.LBB2_40:                               ;   in Loop: Header=BB2_4 Depth=1
	s_or_b64 exec, exec, s[0:1]
	v_add_co_u32_e32 v0, vcc, 1, v0
	v_addc_co_u32_e32 v1, vcc, 0, v1, vcc
	v_cmp_gt_i64_e32 vcc, s[48:49], v[0:1]
	v_mov_b32_e32 v2, s49
	v_cndmask_b32_e32 v25, v2, v1, vcc
	v_mov_b32_e32 v1, s48
	v_cndmask_b32_e32 v24, v1, v0, vcc
	v_cmp_lt_i64_e32 vcc, v[22:23], v[24:25]
	v_mov_b32_e32 v2, 0
	v_mov_b32_e32 v0, 0
	;; [unrolled: 1-line block ×4, first 2 shown]
	s_and_saveexec_b64 s[56:57], vcc
	s_cbranch_execz .LBB2_3
; %bb.41:                               ;   in Loop: Header=BB2_4 Depth=1
	v_add_co_u32_e32 v0, vcc, 1, v26
	v_addc_co_u32_e32 v1, vcc, 0, v27, vcc
	v_cmp_gt_i64_e32 vcc, s[50:51], v[0:1]
	v_mov_b32_e32 v2, s51
	v_cndmask_b32_e32 v27, v2, v1, vcc
	v_lshlrev_b64 v[1:2], 4, v[14:15]
	v_mul_lo_u32 v5, v19, s20
	v_mul_lo_u32 v28, v18, s21
	v_mad_u64_u32 v[18:19], s[0:1], v18, s20, 0
	v_mul_lo_u32 v29, s12, v9
	v_mul_lo_u32 v30, s13, v8
	v_mad_u64_u32 v[1:2], s[0:1], s12, v8, v[1:2]
	v_mov_b32_e32 v3, s50
	v_cndmask_b32_e32 v26, v3, v0, vcc
	v_add3_u32 v19, v19, v28, v5
	v_add3_u32 v0, v30, v2, v29
	v_mov_b32_e32 v2, s11
	v_add_co_u32_e32 v28, vcc, s10, v1
	v_addc_co_u32_e32 v29, vcc, v2, v0, vcc
	v_mul_lo_u32 v3, s43, v14
	v_mul_lo_u32 v5, s42, v15
	v_mad_u64_u32 v[0:1], s[2:3], s42, v14, 0
	v_mov_b32_e32 v2, s39
	v_add_co_u32_e32 v30, vcc, s38, v6
	v_addc_co_u32_e32 v2, vcc, v2, v7, vcc
	v_add3_u32 v1, v1, v5, v3
	v_sub_co_u32_e32 v0, vcc, v30, v0
	v_subb_co_u32_e32 v1, vcc, v2, v1, vcc
	v_sub_co_u32_e32 v0, vcc, v0, v20
	v_subb_co_u32_e32 v1, vcc, v1, v21, vcc
	v_sub_co_u32_e32 v12, vcc, v0, v12
	v_mov_b32_e32 v2, 0
	v_cmp_lt_i64_e64 s[0:1], v[14:15], v[26:27]
	v_subb_co_u32_e32 v13, vcc, v1, v13, vcc
	v_mov_b32_e32 v3, 0
	v_mov_b32_e32 v0, v2
	s_mov_b64 s[58:59], 0
	v_mov_b32_e32 v1, v3
	s_branch .LBB2_44
.LBB2_42:                               ;   in Loop: Header=BB2_44 Depth=2
	s_or_b64 exec, exec, s[62:63]
.LBB2_43:                               ;   in Loop: Header=BB2_44 Depth=2
	s_or_b64 exec, exec, s[60:61]
	v_add_co_u32_e32 v22, vcc, 1, v22
	v_addc_co_u32_e32 v23, vcc, 0, v23, vcc
	v_cmp_ge_i64_e32 vcc, v[22:23], v[24:25]
	s_or_b64 s[58:59], vcc, s[58:59]
	s_andn2_b64 exec, exec, s[58:59]
	s_cbranch_execz .LBB2_2
.LBB2_44:                               ;   Parent Loop BB2_4 Depth=1
                                        ; =>  This Loop Header: Depth=2
                                        ;       Child Loop BB2_52 Depth 3
	s_and_saveexec_b64 s[60:61], s[0:1]
	s_cbranch_execz .LBB2_43
; %bb.45:                               ;   in Loop: Header=BB2_44 Depth=2
	v_mul_lo_u32 v5, v23, s40
	v_mul_lo_u32 v30, v22, s41
	v_mad_u64_u32 v[20:21], s[2:3], v22, s40, 0
	v_add3_u32 v5, v21, v30, v5
	v_sub_co_u32_e32 v30, vcc, v16, v20
	v_subb_co_u32_e32 v31, vcc, v17, v5, vcc
	v_or_b32_e32 v5, s45, v31
	v_cmp_ne_u64_e32 vcc, 0, v[4:5]
                                        ; implicit-def: $vgpr20_vgpr21
	s_and_saveexec_b64 s[2:3], vcc
	s_xor_b64 s[4:5], exec, s[2:3]
	s_cbranch_execz .LBB2_47
; %bb.46:                               ;   in Loop: Header=BB2_44 Depth=2
	s_ashr_i32 s62, s45, 31
	s_add_u32 s2, s44, s62
	s_mov_b32 s63, s62
	s_addc_u32 s3, s45, s62
	s_xor_b64 s[64:65], s[2:3], s[62:63]
	v_cvt_f32_u32_e32 v5, s64
	v_cvt_f32_u32_e32 v20, s65
	s_sub_u32 s63, 0, s64
	s_subb_u32 s66, 0, s65
	v_mac_f32_e32 v5, 0x4f800000, v20
	v_rcp_f32_e32 v5, v5
	v_mul_f32_e32 v5, 0x5f7ffffc, v5
	v_mul_f32_e32 v20, 0x2f800000, v5
	v_trunc_f32_e32 v20, v20
	v_mac_f32_e32 v5, 0xcf800000, v20
	v_cvt_u32_f32_e32 v20, v20
	v_cvt_u32_f32_e32 v5, v5
	v_readfirstlane_b32 s67, v20
	v_readfirstlane_b32 s2, v5
	s_mul_i32 s3, s63, s67
	s_mul_hi_u32 s69, s63, s2
	s_mul_i32 s68, s66, s2
	s_add_i32 s3, s69, s3
	s_add_i32 s3, s3, s68
	s_mul_i32 s70, s63, s2
	s_mul_i32 s69, s2, s3
	s_mul_hi_u32 s71, s2, s70
	s_mul_hi_u32 s68, s2, s3
	s_add_u32 s69, s71, s69
	s_addc_u32 s68, 0, s68
	s_mul_hi_u32 s74, s67, s70
	s_mul_i32 s70, s67, s70
	s_add_u32 s69, s69, s70
	s_mul_hi_u32 s71, s67, s3
	s_addc_u32 s68, s68, s74
	s_addc_u32 s69, s71, 0
	s_mul_i32 s3, s67, s3
	s_add_u32 s3, s68, s3
	s_addc_u32 s68, 0, s69
	s_add_u32 s69, s2, s3
	s_cselect_b64 s[2:3], -1, 0
	s_cmp_lg_u64 s[2:3], 0
	s_addc_u32 s67, s67, s68
	s_mul_i32 s2, s63, s67
	s_mul_hi_u32 s3, s63, s69
	s_add_i32 s2, s3, s2
	s_mul_i32 s66, s66, s69
	s_add_i32 s2, s2, s66
	s_mul_i32 s63, s63, s69
	s_mul_hi_u32 s66, s67, s63
	s_mul_i32 s68, s67, s63
	s_mul_i32 s71, s69, s2
	s_mul_hi_u32 s63, s69, s63
	s_mul_hi_u32 s70, s69, s2
	s_add_u32 s63, s63, s71
	s_addc_u32 s70, 0, s70
	s_add_u32 s63, s63, s68
	s_mul_hi_u32 s3, s67, s2
	s_addc_u32 s63, s70, s66
	s_addc_u32 s3, s3, 0
	s_mul_i32 s2, s67, s2
	s_add_u32 s2, s63, s2
	s_addc_u32 s63, 0, s3
	s_add_u32 s66, s69, s2
	s_cselect_b64 s[2:3], -1, 0
	v_ashrrev_i32_e32 v5, 31, v31
	s_cmp_lg_u64 s[2:3], 0
	v_add_co_u32_e32 v20, vcc, v30, v5
	s_addc_u32 s63, s67, s63
	v_xor_b32_e32 v34, v20, v5
	v_mad_u64_u32 v[20:21], s[2:3], v34, s63, 0
	v_mul_hi_u32 v33, v34, s66
	v_addc_co_u32_e32 v32, vcc, v31, v5, vcc
	v_xor_b32_e32 v35, v32, v5
	v_add_co_u32_e32 v36, vcc, v33, v20
	v_addc_co_u32_e32 v37, vcc, 0, v21, vcc
	v_mad_u64_u32 v[20:21], s[2:3], v35, s66, 0
	v_mad_u64_u32 v[32:33], s[2:3], v35, s63, 0
	v_add_co_u32_e32 v20, vcc, v36, v20
	v_addc_co_u32_e32 v20, vcc, v37, v21, vcc
	v_addc_co_u32_e32 v21, vcc, 0, v33, vcc
	v_add_co_u32_e32 v32, vcc, v20, v32
	v_addc_co_u32_e32 v33, vcc, 0, v21, vcc
	v_mul_lo_u32 v36, s65, v32
	v_mul_lo_u32 v37, s64, v33
	v_mad_u64_u32 v[20:21], s[2:3], s64, v32, 0
	v_xor_b32_e32 v5, s62, v5
	v_add3_u32 v21, v21, v37, v36
	v_sub_u32_e32 v36, v35, v21
	v_mov_b32_e32 v37, s65
	v_sub_co_u32_e32 v20, vcc, v34, v20
	v_subb_co_u32_e64 v34, s[2:3], v36, v37, vcc
	v_subrev_co_u32_e64 v36, s[2:3], s64, v20
	v_subbrev_co_u32_e64 v34, s[2:3], 0, v34, s[2:3]
	v_cmp_le_u32_e64 s[2:3], s65, v34
	v_cndmask_b32_e64 v37, 0, -1, s[2:3]
	v_cmp_le_u32_e64 s[2:3], s64, v36
	v_cndmask_b32_e64 v36, 0, -1, s[2:3]
	v_cmp_eq_u32_e64 s[2:3], s65, v34
	v_cndmask_b32_e64 v34, v37, v36, s[2:3]
	v_add_co_u32_e64 v36, s[2:3], 2, v32
	v_subb_co_u32_e32 v21, vcc, v35, v21, vcc
	v_addc_co_u32_e64 v37, s[2:3], 0, v33, s[2:3]
	v_cmp_le_u32_e32 vcc, s65, v21
	v_add_co_u32_e64 v38, s[2:3], 1, v32
	v_cndmask_b32_e64 v35, 0, -1, vcc
	v_cmp_le_u32_e32 vcc, s64, v20
	v_addc_co_u32_e64 v39, s[2:3], 0, v33, s[2:3]
	v_cndmask_b32_e64 v20, 0, -1, vcc
	v_cmp_eq_u32_e32 vcc, s65, v21
	v_cmp_ne_u32_e64 s[2:3], 0, v34
	v_cndmask_b32_e32 v20, v35, v20, vcc
	v_cndmask_b32_e64 v34, v39, v37, s[2:3]
	v_cmp_ne_u32_e32 vcc, 0, v20
	v_cndmask_b32_e64 v21, v38, v36, s[2:3]
	v_cndmask_b32_e32 v20, v33, v34, vcc
	v_cndmask_b32_e32 v21, v32, v21, vcc
	v_xor_b32_e32 v32, v20, v5
	v_xor_b32_e32 v20, v21, v5
	v_sub_co_u32_e32 v20, vcc, v20, v5
	v_subb_co_u32_e32 v21, vcc, v32, v5, vcc
.LBB2_47:                               ;   in Loop: Header=BB2_44 Depth=2
	s_andn2_saveexec_b64 s[2:3], s[4:5]
	s_cbranch_execz .LBB2_49
; %bb.48:                               ;   in Loop: Header=BB2_44 Depth=2
	v_cvt_f32_u32_e32 v5, s44
	s_sub_i32 s4, 0, s44
	v_rcp_iflag_f32_e32 v5, v5
	v_mul_f32_e32 v5, 0x4f7ffffe, v5
	v_cvt_u32_f32_e32 v5, v5
	v_mul_lo_u32 v20, s4, v5
	v_mul_hi_u32 v20, v5, v20
	v_add_u32_e32 v5, v5, v20
	v_mul_hi_u32 v5, v30, v5
	v_mul_lo_u32 v20, v5, s44
	v_add_u32_e32 v21, 1, v5
	v_sub_u32_e32 v20, v30, v20
	v_subrev_u32_e32 v32, s44, v20
	v_cmp_le_u32_e32 vcc, s44, v20
	v_cndmask_b32_e32 v20, v20, v32, vcc
	v_cndmask_b32_e32 v5, v5, v21, vcc
	v_add_u32_e32 v21, 1, v5
	v_cmp_le_u32_e32 vcc, s44, v20
	v_cndmask_b32_e32 v20, v5, v21, vcc
	v_mov_b32_e32 v21, v4
.LBB2_49:                               ;   in Loop: Header=BB2_44 Depth=2
	s_or_b64 exec, exec, s[2:3]
	v_mul_lo_u32 v5, v21, s44
	v_mul_lo_u32 v34, v20, s45
	v_mad_u64_u32 v[32:33], s[2:3], v20, s44, 0
	v_add_co_u32_e32 v20, vcc, v20, v18
	v_addc_co_u32_e32 v21, vcc, v21, v19, vcc
	v_add3_u32 v5, v33, v34, v5
	v_mul_lo_u32 v33, v21, s22
	v_mul_lo_u32 v34, v20, s23
	v_mad_u64_u32 v[20:21], s[2:3], v20, s22, 0
	v_sub_co_u32_e32 v30, vcc, v30, v32
	v_subb_co_u32_e32 v31, vcc, v31, v5, vcc
	v_cmp_eq_u64_e64 s[2:3], 0, v[30:31]
	v_add3_u32 v21, v21, v34, v33
	v_mov_b32_e32 v31, v13
	v_mov_b32_e32 v33, v29
	;; [unrolled: 1-line block ×3, first 2 shown]
	s_mov_b64 s[62:63], 0
	v_mov_b32_e32 v30, v12
	v_mov_b32_e32 v32, v28
	;; [unrolled: 1-line block ×3, first 2 shown]
	s_branch .LBB2_52
.LBB2_50:                               ;   in Loop: Header=BB2_52 Depth=3
	s_or_b64 exec, exec, s[4:5]
.LBB2_51:                               ;   in Loop: Header=BB2_52 Depth=3
	s_or_b64 exec, exec, s[64:65]
	v_add_co_u32_e32 v34, vcc, 1, v34
	v_addc_co_u32_e32 v35, vcc, 0, v35, vcc
	v_add_co_u32_e32 v32, vcc, 16, v32
	v_addc_co_u32_e32 v33, vcc, 0, v33, vcc
	v_cmp_ge_i64_e32 vcc, v[34:35], v[26:27]
	v_mov_b32_e32 v5, s43
	s_or_b64 s[62:63], vcc, s[62:63]
	v_subrev_co_u32_e32 v30, vcc, s42, v30
	v_subb_co_u32_e32 v31, vcc, v31, v5, vcc
	s_andn2_b64 exec, exec, s[62:63]
	s_cbranch_execz .LBB2_42
.LBB2_52:                               ;   Parent Loop BB2_4 Depth=1
                                        ;     Parent Loop BB2_44 Depth=2
                                        ; =>    This Inner Loop Header: Depth=3
	s_and_saveexec_b64 s[64:65], s[2:3]
	s_cbranch_execz .LBB2_51
; %bb.53:                               ;   in Loop: Header=BB2_52 Depth=3
	v_or_b32_e32 v5, s47, v31
	v_cmp_ne_u64_e32 vcc, 0, v[4:5]
                                        ; implicit-def: $vgpr36_vgpr37
	s_and_saveexec_b64 s[4:5], vcc
	s_xor_b64 s[66:67], exec, s[4:5]
	s_cbranch_execz .LBB2_55
; %bb.54:                               ;   in Loop: Header=BB2_52 Depth=3
	s_ashr_i32 s68, s47, 31
	s_add_u32 s4, s46, s68
	s_mov_b32 s69, s68
	s_addc_u32 s5, s47, s68
	s_xor_b64 s[70:71], s[4:5], s[68:69]
	v_cvt_f32_u32_e32 v5, s70
	v_cvt_f32_u32_e32 v36, s71
	s_sub_u32 s69, 0, s70
	s_subb_u32 s74, 0, s71
	v_mac_f32_e32 v5, 0x4f800000, v36
	v_rcp_f32_e32 v5, v5
	v_mul_f32_e32 v5, 0x5f7ffffc, v5
	v_mul_f32_e32 v36, 0x2f800000, v5
	v_trunc_f32_e32 v36, v36
	v_mac_f32_e32 v5, 0xcf800000, v36
	v_cvt_u32_f32_e32 v36, v36
	v_cvt_u32_f32_e32 v5, v5
	v_readfirstlane_b32 s75, v36
	v_readfirstlane_b32 s4, v5
	s_mul_i32 s5, s69, s75
	s_mul_hi_u32 s77, s69, s4
	s_mul_i32 s76, s74, s4
	s_add_i32 s5, s77, s5
	s_add_i32 s5, s5, s76
	s_mul_i32 s78, s69, s4
	s_mul_i32 s77, s4, s5
	s_mul_hi_u32 s79, s4, s78
	s_mul_hi_u32 s76, s4, s5
	s_add_u32 s77, s79, s77
	s_addc_u32 s76, 0, s76
	s_mul_hi_u32 s80, s75, s78
	s_mul_i32 s78, s75, s78
	s_add_u32 s77, s77, s78
	s_mul_hi_u32 s79, s75, s5
	s_addc_u32 s76, s76, s80
	s_addc_u32 s77, s79, 0
	s_mul_i32 s5, s75, s5
	s_add_u32 s5, s76, s5
	s_addc_u32 s76, 0, s77
	s_add_u32 s77, s4, s5
	s_cselect_b64 s[4:5], -1, 0
	s_cmp_lg_u64 s[4:5], 0
	s_addc_u32 s75, s75, s76
	s_mul_i32 s4, s69, s75
	s_mul_hi_u32 s5, s69, s77
	s_add_i32 s4, s5, s4
	s_mul_i32 s74, s74, s77
	s_add_i32 s4, s4, s74
	s_mul_i32 s69, s69, s77
	s_mul_hi_u32 s74, s75, s69
	s_mul_i32 s76, s75, s69
	s_mul_i32 s79, s77, s4
	s_mul_hi_u32 s69, s77, s69
	s_mul_hi_u32 s78, s77, s4
	s_add_u32 s69, s69, s79
	s_addc_u32 s78, 0, s78
	s_add_u32 s69, s69, s76
	s_mul_hi_u32 s5, s75, s4
	s_addc_u32 s69, s78, s74
	s_addc_u32 s5, s5, 0
	s_mul_i32 s4, s75, s4
	s_add_u32 s4, s69, s4
	s_addc_u32 s69, 0, s5
	s_add_u32 s74, s77, s4
	s_cselect_b64 s[4:5], -1, 0
	v_ashrrev_i32_e32 v5, 31, v31
	s_cmp_lg_u64 s[4:5], 0
	v_add_co_u32_e32 v36, vcc, v30, v5
	s_addc_u32 s69, s75, s69
	v_xor_b32_e32 v40, v36, v5
	v_mad_u64_u32 v[36:37], s[4:5], v40, s69, 0
	v_mul_hi_u32 v39, v40, s74
	v_addc_co_u32_e32 v38, vcc, v31, v5, vcc
	v_xor_b32_e32 v41, v38, v5
	v_add_co_u32_e32 v42, vcc, v39, v36
	v_addc_co_u32_e32 v43, vcc, 0, v37, vcc
	v_mad_u64_u32 v[36:37], s[4:5], v41, s74, 0
	v_mad_u64_u32 v[38:39], s[4:5], v41, s69, 0
	v_add_co_u32_e32 v36, vcc, v42, v36
	v_addc_co_u32_e32 v36, vcc, v43, v37, vcc
	v_addc_co_u32_e32 v37, vcc, 0, v39, vcc
	v_add_co_u32_e32 v38, vcc, v36, v38
	v_addc_co_u32_e32 v39, vcc, 0, v37, vcc
	v_mul_lo_u32 v42, s71, v38
	v_mul_lo_u32 v43, s70, v39
	v_mad_u64_u32 v[36:37], s[4:5], s70, v38, 0
	v_xor_b32_e32 v5, s68, v5
	v_add3_u32 v37, v37, v43, v42
	v_sub_u32_e32 v42, v41, v37
	v_mov_b32_e32 v43, s71
	v_sub_co_u32_e32 v36, vcc, v40, v36
	v_subb_co_u32_e64 v40, s[4:5], v42, v43, vcc
	v_subrev_co_u32_e64 v42, s[4:5], s70, v36
	v_subbrev_co_u32_e64 v40, s[4:5], 0, v40, s[4:5]
	v_cmp_le_u32_e64 s[4:5], s71, v40
	v_cndmask_b32_e64 v43, 0, -1, s[4:5]
	v_cmp_le_u32_e64 s[4:5], s70, v42
	v_cndmask_b32_e64 v42, 0, -1, s[4:5]
	v_cmp_eq_u32_e64 s[4:5], s71, v40
	v_cndmask_b32_e64 v40, v43, v42, s[4:5]
	v_add_co_u32_e64 v42, s[4:5], 2, v38
	v_subb_co_u32_e32 v37, vcc, v41, v37, vcc
	v_addc_co_u32_e64 v43, s[4:5], 0, v39, s[4:5]
	v_cmp_le_u32_e32 vcc, s71, v37
	v_add_co_u32_e64 v44, s[4:5], 1, v38
	v_cndmask_b32_e64 v41, 0, -1, vcc
	v_cmp_le_u32_e32 vcc, s70, v36
	v_addc_co_u32_e64 v45, s[4:5], 0, v39, s[4:5]
	v_cndmask_b32_e64 v36, 0, -1, vcc
	v_cmp_eq_u32_e32 vcc, s71, v37
	v_cmp_ne_u32_e64 s[4:5], 0, v40
	v_cndmask_b32_e32 v36, v41, v36, vcc
	v_cndmask_b32_e64 v40, v45, v43, s[4:5]
	v_cmp_ne_u32_e32 vcc, 0, v36
	v_cndmask_b32_e64 v37, v44, v42, s[4:5]
	v_cndmask_b32_e32 v36, v39, v40, vcc
	v_cndmask_b32_e32 v37, v38, v37, vcc
	v_xor_b32_e32 v38, v36, v5
	v_xor_b32_e32 v36, v37, v5
	v_sub_co_u32_e32 v36, vcc, v36, v5
	v_subb_co_u32_e32 v37, vcc, v38, v5, vcc
.LBB2_55:                               ;   in Loop: Header=BB2_52 Depth=3
	s_andn2_saveexec_b64 s[4:5], s[66:67]
	s_cbranch_execz .LBB2_57
; %bb.56:                               ;   in Loop: Header=BB2_52 Depth=3
	v_cvt_f32_u32_e32 v5, s46
	s_sub_i32 s66, 0, s46
	v_rcp_iflag_f32_e32 v5, v5
	v_mul_f32_e32 v5, 0x4f7ffffe, v5
	v_cvt_u32_f32_e32 v5, v5
	v_mul_lo_u32 v36, s66, v5
	v_mul_hi_u32 v36, v5, v36
	v_add_u32_e32 v5, v5, v36
	v_mul_hi_u32 v5, v30, v5
	v_mul_lo_u32 v36, v5, s46
	v_add_u32_e32 v37, 1, v5
	v_sub_u32_e32 v36, v30, v36
	v_subrev_u32_e32 v38, s46, v36
	v_cmp_le_u32_e32 vcc, s46, v36
	v_cndmask_b32_e32 v36, v36, v38, vcc
	v_cndmask_b32_e32 v5, v5, v37, vcc
	v_add_u32_e32 v37, 1, v5
	v_cmp_le_u32_e32 vcc, s46, v36
	v_cndmask_b32_e32 v36, v5, v37, vcc
	v_mov_b32_e32 v37, v4
.LBB2_57:                               ;   in Loop: Header=BB2_52 Depth=3
	s_or_b64 exec, exec, s[4:5]
	v_mul_lo_u32 v5, v37, s46
	v_mul_lo_u32 v40, v36, s47
	v_mad_u64_u32 v[38:39], s[4:5], v36, s46, 0
	v_add3_u32 v5, v39, v40, v5
	v_sub_co_u32_e32 v38, vcc, v30, v38
	v_subb_co_u32_e32 v39, vcc, v31, v5, vcc
	v_cmp_eq_u64_e32 vcc, 0, v[38:39]
	s_and_saveexec_b64 s[4:5], vcc
	s_cbranch_execz .LBB2_50
; %bb.58:                               ;   in Loop: Header=BB2_52 Depth=3
	v_add_co_u32_e32 v5, vcc, v20, v36
	v_addc_co_u32_e32 v36, vcc, v21, v37, vcc
	v_mul_lo_u32 v38, v5, s49
	v_mul_lo_u32 v39, v36, s48
	v_mad_u64_u32 v[36:37], s[66:67], v5, s48, v[22:23]
	v_add3_u32 v5, v39, v37, v38
	v_mul_lo_u32 v5, s52, v5
	v_mul_lo_u32 v38, s53, v36
	v_mad_u64_u32 v[36:37], s[66:67], s52, v36, v[32:33]
	v_add3_u32 v37, v38, v37, v5
	global_load_dwordx4 v[36:39], v[36:37], off
	s_waitcnt vmcnt(0)
	v_add_f64 v[0:1], v[0:1], v[36:37]
	v_add_f64 v[2:3], v[2:3], v[38:39]
	s_branch .LBB2_50
.LBB2_59:
	s_endpgm
	.section	.rodata,"a",@progbits
	.p2align	6, 0x0
	.amdhsa_kernel _ZN2at6native21col2im_batched_kernelIN3c107complexIdEEEEvlPKT_llllllllllllllPS5_l
		.amdhsa_group_segment_fixed_size 0
		.amdhsa_private_segment_fixed_size 0
		.amdhsa_kernarg_size 400
		.amdhsa_user_sgpr_count 6
		.amdhsa_user_sgpr_private_segment_buffer 1
		.amdhsa_user_sgpr_dispatch_ptr 0
		.amdhsa_user_sgpr_queue_ptr 0
		.amdhsa_user_sgpr_kernarg_segment_ptr 1
		.amdhsa_user_sgpr_dispatch_id 0
		.amdhsa_user_sgpr_flat_scratch_init 0
		.amdhsa_user_sgpr_private_segment_size 0
		.amdhsa_uses_dynamic_stack 0
		.amdhsa_system_sgpr_private_segment_wavefront_offset 0
		.amdhsa_system_sgpr_workgroup_id_x 1
		.amdhsa_system_sgpr_workgroup_id_y 0
		.amdhsa_system_sgpr_workgroup_id_z 0
		.amdhsa_system_sgpr_workgroup_info 0
		.amdhsa_system_vgpr_workitem_id 0
		.amdhsa_next_free_vgpr 46
		.amdhsa_next_free_sgpr 81
		.amdhsa_reserve_vcc 1
		.amdhsa_reserve_flat_scratch 0
		.amdhsa_float_round_mode_32 0
		.amdhsa_float_round_mode_16_64 0
		.amdhsa_float_denorm_mode_32 3
		.amdhsa_float_denorm_mode_16_64 3
		.amdhsa_dx10_clamp 1
		.amdhsa_ieee_mode 1
		.amdhsa_fp16_overflow 0
		.amdhsa_exception_fp_ieee_invalid_op 0
		.amdhsa_exception_fp_denorm_src 0
		.amdhsa_exception_fp_ieee_div_zero 0
		.amdhsa_exception_fp_ieee_overflow 0
		.amdhsa_exception_fp_ieee_underflow 0
		.amdhsa_exception_fp_ieee_inexact 0
		.amdhsa_exception_int_div_zero 0
	.end_amdhsa_kernel
	.section	.text._ZN2at6native21col2im_batched_kernelIN3c107complexIdEEEEvlPKT_llllllllllllllPS5_l,"axG",@progbits,_ZN2at6native21col2im_batched_kernelIN3c107complexIdEEEEvlPKT_llllllllllllllPS5_l,comdat
.Lfunc_end2:
	.size	_ZN2at6native21col2im_batched_kernelIN3c107complexIdEEEEvlPKT_llllllllllllllPS5_l, .Lfunc_end2-_ZN2at6native21col2im_batched_kernelIN3c107complexIdEEEEvlPKT_llllllllllllllPS5_l
                                        ; -- End function
	.set _ZN2at6native21col2im_batched_kernelIN3c107complexIdEEEEvlPKT_llllllllllllllPS5_l.num_vgpr, 46
	.set _ZN2at6native21col2im_batched_kernelIN3c107complexIdEEEEvlPKT_llllllllllllllPS5_l.num_agpr, 0
	.set _ZN2at6native21col2im_batched_kernelIN3c107complexIdEEEEvlPKT_llllllllllllllPS5_l.numbered_sgpr, 81
	.set _ZN2at6native21col2im_batched_kernelIN3c107complexIdEEEEvlPKT_llllllllllllllPS5_l.num_named_barrier, 0
	.set _ZN2at6native21col2im_batched_kernelIN3c107complexIdEEEEvlPKT_llllllllllllllPS5_l.private_seg_size, 0
	.set _ZN2at6native21col2im_batched_kernelIN3c107complexIdEEEEvlPKT_llllllllllllllPS5_l.uses_vcc, 1
	.set _ZN2at6native21col2im_batched_kernelIN3c107complexIdEEEEvlPKT_llllllllllllllPS5_l.uses_flat_scratch, 0
	.set _ZN2at6native21col2im_batched_kernelIN3c107complexIdEEEEvlPKT_llllllllllllllPS5_l.has_dyn_sized_stack, 0
	.set _ZN2at6native21col2im_batched_kernelIN3c107complexIdEEEEvlPKT_llllllllllllllPS5_l.has_recursion, 0
	.set _ZN2at6native21col2im_batched_kernelIN3c107complexIdEEEEvlPKT_llllllllllllllPS5_l.has_indirect_call, 0
	.section	.AMDGPU.csdata,"",@progbits
; Kernel info:
; codeLenInByte = 8572
; TotalNumSgprs: 85
; NumVgprs: 46
; ScratchSize: 0
; MemoryBound: 0
; FloatMode: 240
; IeeeMode: 1
; LDSByteSize: 0 bytes/workgroup (compile time only)
; SGPRBlocks: 10
; VGPRBlocks: 11
; NumSGPRsForWavesPerEU: 85
; NumVGPRsForWavesPerEU: 46
; Occupancy: 5
; WaveLimiterHint : 0
; COMPUTE_PGM_RSRC2:SCRATCH_EN: 0
; COMPUTE_PGM_RSRC2:USER_SGPR: 6
; COMPUTE_PGM_RSRC2:TRAP_HANDLER: 0
; COMPUTE_PGM_RSRC2:TGID_X_EN: 1
; COMPUTE_PGM_RSRC2:TGID_Y_EN: 0
; COMPUTE_PGM_RSRC2:TGID_Z_EN: 0
; COMPUTE_PGM_RSRC2:TIDIG_COMP_CNT: 0
	.section	.text._ZN2at6native21col2im_batched_kernelIN3c107complexIfEEEEvlPKT_llllllllllllllPS5_l,"axG",@progbits,_ZN2at6native21col2im_batched_kernelIN3c107complexIfEEEEvlPKT_llllllllllllllPS5_l,comdat
	.protected	_ZN2at6native21col2im_batched_kernelIN3c107complexIfEEEEvlPKT_llllllllllllllPS5_l ; -- Begin function _ZN2at6native21col2im_batched_kernelIN3c107complexIfEEEEvlPKT_llllllllllllllPS5_l
	.globl	_ZN2at6native21col2im_batched_kernelIN3c107complexIfEEEEvlPKT_llllllllllllllPS5_l
	.p2align	8
	.type	_ZN2at6native21col2im_batched_kernelIN3c107complexIfEEEEvlPKT_llllllllllllllPS5_l,@function
_ZN2at6native21col2im_batched_kernelIN3c107complexIfEEEEvlPKT_llllllllllllllPS5_l: ; @_ZN2at6native21col2im_batched_kernelIN3c107complexIfEEEEvlPKT_llllllllllllllPS5_l
; %bb.0:
	s_load_dwordx16 s[8:23], s[4:5], 0x0
	s_load_dword s2, s[4:5], 0x9c
	v_mov_b32_e32 v2, 0
	v_mov_b32_e32 v1, v2
	;; [unrolled: 1-line block ×3, first 2 shown]
	s_waitcnt lgkmcnt(0)
	s_mul_i32 s0, s14, s9
	s_mul_hi_u32 s1, s14, s8
	s_add_i32 s0, s1, s0
	s_mul_i32 s1, s15, s8
	s_add_i32 s7, s0, s1
	s_add_u32 s0, s4, 0x90
	s_addc_u32 s1, s5, 0
	s_and_b32 s2, s2, 0xffff
	v_mad_u64_u32 v[0:1], s[24:25], s2, v3, v[0:1]
	s_mul_i32 s6, s14, s8
	v_cmp_gt_i64_e32 vcc, s[6:7], v[0:1]
	s_and_saveexec_b64 s[14:15], vcc
	s_cbranch_execz .LBB3_59
; %bb.1:
	s_load_dwordx16 s[36:51], s[4:5], 0x40
	s_load_dwordx4 s[24:27], s[4:5], 0x80
	s_load_dword s3, s[0:1], 0x0
	s_mul_i32 s0, s18, s17
	s_mul_hi_u32 s1, s18, s16
	s_add_i32 s0, s1, s0
	s_mul_i32 s1, s19, s16
	s_add_i32 s33, s0, s1
	s_add_u32 s0, s22, -1
	s_addc_u32 s1, s23, -1
	s_waitcnt lgkmcnt(0)
	s_mul_i32 s1, s46, s1
	s_mul_hi_u32 s4, s46, s0
	s_add_i32 s1, s4, s1
	s_mul_i32 s4, s47, s0
	s_add_i32 s15, s1, s4
	s_mul_i32 s14, s46, s0
	s_add_u32 s0, s20, -1
	s_addc_u32 s1, s21, -1
	s_mul_i32 s1, s44, s1
	s_mul_hi_u32 s4, s44, s0
	s_add_i32 s1, s4, s1
	s_mul_i32 s4, s45, s0
	s_add_i32 s29, s1, s4
	s_mul_i32 s28, s44, s0
	s_mul_i32 s72, s18, s16
	s_not_b64 s[30:31], s[28:29]
	s_not_b64 s[34:35], s[14:15]
	s_mul_i32 s73, s3, s2
	s_lshl_b64 s[52:53], s[50:51], 3
	s_lshl_b64 s[12:13], s[12:13], 3
	s_mov_b64 s[54:55], 0
	s_branch .LBB3_4
.LBB3_2:                                ;   in Loop: Header=BB3_4 Depth=1
	s_or_b64 exec, exec, s[58:59]
.LBB3_3:                                ;   in Loop: Header=BB3_4 Depth=1
	s_or_b64 exec, exec, s[56:57]
	v_mul_lo_u32 v5, v5, s26
	v_mul_lo_u32 v8, v4, s27
	v_mad_u64_u32 v[3:4], s[0:1], v4, s26, 0
	v_add3_u32 v4, v4, v8, v5
	v_lshlrev_b64 v[3:4], 3, v[3:4]
	v_mov_b32_e32 v5, s25
	v_add_co_u32_e32 v8, vcc, s24, v3
	v_addc_co_u32_e32 v5, vcc, v5, v4, vcc
	v_add_co_u32_e32 v0, vcc, s73, v0
	v_lshlrev_b64 v[3:4], 3, v[6:7]
	v_addc_co_u32_e32 v1, vcc, 0, v1, vcc
	v_cmp_le_i64_e32 vcc, s[6:7], v[0:1]
	v_add_co_u32_e64 v3, s[0:1], v8, v3
	v_addc_co_u32_e64 v4, s[0:1], v5, v4, s[0:1]
	s_or_b64 s[54:55], vcc, s[54:55]
	global_store_dwordx2 v[3:4], v[22:23], off
	s_andn2_b64 exec, exec, s[54:55]
	s_cbranch_execz .LBB3_59
.LBB3_4:                                ; =>This Loop Header: Depth=1
                                        ;     Child Loop BB3_44 Depth 2
                                        ;       Child Loop BB3_52 Depth 3
	v_or_b32_e32 v3, s9, v1
	v_cmp_ne_u64_e32 vcc, 0, v[2:3]
                                        ; implicit-def: $vgpr4_vgpr5
	s_and_saveexec_b64 s[0:1], vcc
	s_xor_b64 s[2:3], exec, s[0:1]
	s_cbranch_execz .LBB3_6
; %bb.5:                                ;   in Loop: Header=BB3_4 Depth=1
	s_ashr_i32 s4, s9, 31
	s_add_u32 s0, s8, s4
	s_mov_b32 s5, s4
	s_addc_u32 s1, s9, s4
	s_xor_b64 s[56:57], s[0:1], s[4:5]
	v_cvt_f32_u32_e32 v3, s56
	v_cvt_f32_u32_e32 v4, s57
	s_sub_u32 s5, 0, s56
	s_subb_u32 s58, 0, s57
	v_ashrrev_i32_e32 v7, 31, v1
	v_mac_f32_e32 v3, 0x4f800000, v4
	v_rcp_f32_e32 v3, v3
	v_mul_f32_e32 v3, 0x5f7ffffc, v3
	v_mul_f32_e32 v4, 0x2f800000, v3
	v_trunc_f32_e32 v4, v4
	v_mac_f32_e32 v3, 0xcf800000, v4
	v_cvt_u32_f32_e32 v4, v4
	v_cvt_u32_f32_e32 v3, v3
	v_readfirstlane_b32 s59, v4
	v_readfirstlane_b32 s0, v3
	s_mul_i32 s1, s5, s59
	s_mul_hi_u32 s61, s5, s0
	s_mul_i32 s60, s58, s0
	s_add_i32 s1, s61, s1
	s_add_i32 s1, s1, s60
	s_mul_i32 s62, s5, s0
	s_mul_i32 s61, s0, s1
	s_mul_hi_u32 s63, s0, s62
	s_mul_hi_u32 s60, s0, s1
	s_add_u32 s61, s63, s61
	s_addc_u32 s60, 0, s60
	s_mul_hi_u32 s64, s59, s62
	s_mul_i32 s62, s59, s62
	s_add_u32 s61, s61, s62
	s_mul_hi_u32 s63, s59, s1
	s_addc_u32 s60, s60, s64
	s_addc_u32 s61, s63, 0
	s_mul_i32 s1, s59, s1
	s_add_u32 s1, s60, s1
	s_addc_u32 s60, 0, s61
	s_add_u32 s61, s0, s1
	s_cselect_b64 s[0:1], -1, 0
	s_cmp_lg_u64 s[0:1], 0
	s_addc_u32 s59, s59, s60
	s_mul_i32 s0, s5, s59
	s_mul_hi_u32 s1, s5, s61
	s_add_i32 s0, s1, s0
	s_mul_i32 s58, s58, s61
	s_add_i32 s0, s0, s58
	s_mul_i32 s5, s5, s61
	s_mul_hi_u32 s58, s59, s5
	s_mul_i32 s60, s59, s5
	s_mul_i32 s63, s61, s0
	s_mul_hi_u32 s5, s61, s5
	s_mul_hi_u32 s62, s61, s0
	s_add_u32 s5, s5, s63
	s_addc_u32 s62, 0, s62
	s_add_u32 s5, s5, s60
	s_mul_hi_u32 s1, s59, s0
	s_addc_u32 s5, s62, s58
	s_addc_u32 s1, s1, 0
	s_mul_i32 s0, s59, s0
	s_add_u32 s0, s5, s0
	s_addc_u32 s5, 0, s1
	s_add_u32 s58, s61, s0
	s_cselect_b64 s[0:1], -1, 0
	s_cmp_lg_u64 s[0:1], 0
	v_add_co_u32_e32 v3, vcc, v0, v7
	s_addc_u32 s5, s59, s5
	v_xor_b32_e32 v8, v3, v7
	v_mad_u64_u32 v[3:4], s[0:1], v8, s5, 0
	v_mul_hi_u32 v6, v8, s58
	v_addc_co_u32_e32 v5, vcc, v1, v7, vcc
	v_xor_b32_e32 v9, v5, v7
	v_add_co_u32_e32 v10, vcc, v6, v3
	v_addc_co_u32_e32 v11, vcc, 0, v4, vcc
	v_mad_u64_u32 v[3:4], s[0:1], v9, s58, 0
	v_mad_u64_u32 v[5:6], s[0:1], v9, s5, 0
	v_add_co_u32_e32 v3, vcc, v10, v3
	v_addc_co_u32_e32 v3, vcc, v11, v4, vcc
	v_addc_co_u32_e32 v4, vcc, 0, v6, vcc
	v_add_co_u32_e32 v5, vcc, v3, v5
	v_addc_co_u32_e32 v6, vcc, 0, v4, vcc
	v_mul_lo_u32 v10, s57, v5
	v_mul_lo_u32 v11, s56, v6
	v_mad_u64_u32 v[3:4], s[0:1], s56, v5, 0
	v_add3_u32 v4, v4, v11, v10
	v_sub_u32_e32 v10, v9, v4
	v_mov_b32_e32 v11, s57
	v_sub_co_u32_e32 v3, vcc, v8, v3
	v_subb_co_u32_e64 v8, s[0:1], v10, v11, vcc
	v_subrev_co_u32_e64 v10, s[0:1], s56, v3
	v_subbrev_co_u32_e64 v8, s[0:1], 0, v8, s[0:1]
	v_cmp_le_u32_e64 s[0:1], s57, v8
	v_cndmask_b32_e64 v11, 0, -1, s[0:1]
	v_cmp_le_u32_e64 s[0:1], s56, v10
	v_cndmask_b32_e64 v10, 0, -1, s[0:1]
	v_cmp_eq_u32_e64 s[0:1], s57, v8
	v_cndmask_b32_e64 v8, v11, v10, s[0:1]
	v_add_co_u32_e64 v10, s[0:1], 2, v5
	v_subb_co_u32_e32 v4, vcc, v9, v4, vcc
	v_addc_co_u32_e64 v11, s[0:1], 0, v6, s[0:1]
	v_cmp_le_u32_e32 vcc, s57, v4
	v_add_co_u32_e64 v12, s[0:1], 1, v5
	v_cndmask_b32_e64 v9, 0, -1, vcc
	v_cmp_le_u32_e32 vcc, s56, v3
	v_addc_co_u32_e64 v13, s[0:1], 0, v6, s[0:1]
	v_cndmask_b32_e64 v3, 0, -1, vcc
	v_cmp_eq_u32_e32 vcc, s57, v4
	v_cmp_ne_u32_e64 s[0:1], 0, v8
	v_cndmask_b32_e32 v3, v9, v3, vcc
	v_cmp_ne_u32_e32 vcc, 0, v3
	v_cndmask_b32_e64 v4, v12, v10, s[0:1]
	v_cndmask_b32_e64 v8, v13, v11, s[0:1]
	v_cndmask_b32_e32 v4, v5, v4, vcc
	v_xor_b32_e32 v5, s4, v7
	v_cndmask_b32_e32 v3, v6, v8, vcc
	v_xor_b32_e32 v4, v4, v5
	v_xor_b32_e32 v3, v3, v5
	v_sub_co_u32_e32 v4, vcc, v4, v5
	v_subb_co_u32_e32 v5, vcc, v3, v5, vcc
.LBB3_6:                                ;   in Loop: Header=BB3_4 Depth=1
	s_andn2_saveexec_b64 s[0:1], s[2:3]
	s_cbranch_execz .LBB3_8
; %bb.7:                                ;   in Loop: Header=BB3_4 Depth=1
	v_cvt_f32_u32_e32 v3, s8
	s_sub_i32 s2, 0, s8
	v_rcp_iflag_f32_e32 v3, v3
	v_mul_f32_e32 v3, 0x4f7ffffe, v3
	v_cvt_u32_f32_e32 v3, v3
	v_mul_lo_u32 v4, s2, v3
	v_mul_hi_u32 v4, v3, v4
	v_add_u32_e32 v3, v3, v4
	v_mul_hi_u32 v3, v0, v3
	v_mul_lo_u32 v4, v3, s8
	v_add_u32_e32 v5, 1, v3
	v_sub_u32_e32 v4, v0, v4
	v_subrev_u32_e32 v6, s8, v4
	v_cmp_le_u32_e32 vcc, s8, v4
	v_cndmask_b32_e32 v4, v4, v6, vcc
	v_cndmask_b32_e32 v3, v3, v5, vcc
	v_add_u32_e32 v5, 1, v3
	v_cmp_le_u32_e32 vcc, s8, v4
	v_cndmask_b32_e32 v4, v3, v5, vcc
	v_mov_b32_e32 v5, v2
.LBB3_8:                                ;   in Loop: Header=BB3_4 Depth=1
	s_or_b64 exec, exec, s[0:1]
	v_mul_lo_u32 v3, v5, s8
	v_mul_lo_u32 v6, v4, s9
	v_mad_u64_u32 v[8:9], s[0:1], v4, s8, 0
                                        ; implicit-def: $vgpr10_vgpr11
	v_add3_u32 v9, v9, v6, v3
	v_sub_co_u32_e32 v6, vcc, v0, v8
	v_subb_co_u32_e32 v7, vcc, v1, v9, vcc
	v_or_b32_e32 v3, s19, v7
	v_cmp_ne_u64_e32 vcc, 0, v[2:3]
	v_ashrrev_i32_e32 v16, 31, v7
	s_and_saveexec_b64 s[0:1], vcc
	s_xor_b64 s[2:3], exec, s[0:1]
	s_cbranch_execz .LBB3_10
; %bb.9:                                ;   in Loop: Header=BB3_4 Depth=1
	s_ashr_i32 s4, s19, 31
	s_add_u32 s0, s18, s4
	s_mov_b32 s5, s4
	s_addc_u32 s1, s19, s4
	s_xor_b64 s[56:57], s[0:1], s[4:5]
	v_cvt_f32_u32_e32 v3, s56
	v_cvt_f32_u32_e32 v10, s57
	s_sub_u32 s5, 0, s56
	s_subb_u32 s58, 0, s57
	v_mac_f32_e32 v3, 0x4f800000, v10
	v_rcp_f32_e32 v3, v3
	v_mul_f32_e32 v3, 0x5f7ffffc, v3
	v_mul_f32_e32 v10, 0x2f800000, v3
	v_trunc_f32_e32 v10, v10
	v_mac_f32_e32 v3, 0xcf800000, v10
	v_cvt_u32_f32_e32 v10, v10
	v_cvt_u32_f32_e32 v3, v3
	v_readfirstlane_b32 s59, v10
	v_readfirstlane_b32 s0, v3
	s_mul_i32 s1, s5, s59
	s_mul_hi_u32 s61, s5, s0
	s_mul_i32 s60, s58, s0
	s_add_i32 s1, s61, s1
	s_add_i32 s1, s1, s60
	s_mul_i32 s62, s5, s0
	s_mul_i32 s61, s0, s1
	s_mul_hi_u32 s63, s0, s62
	s_mul_hi_u32 s60, s0, s1
	s_add_u32 s61, s63, s61
	s_addc_u32 s60, 0, s60
	s_mul_hi_u32 s64, s59, s62
	s_mul_i32 s62, s59, s62
	s_add_u32 s61, s61, s62
	s_mul_hi_u32 s63, s59, s1
	s_addc_u32 s60, s60, s64
	s_addc_u32 s61, s63, 0
	s_mul_i32 s1, s59, s1
	s_add_u32 s1, s60, s1
	s_addc_u32 s60, 0, s61
	s_add_u32 s61, s0, s1
	s_cselect_b64 s[0:1], -1, 0
	s_cmp_lg_u64 s[0:1], 0
	s_addc_u32 s59, s59, s60
	s_mul_i32 s0, s5, s59
	s_mul_hi_u32 s1, s5, s61
	s_add_i32 s0, s1, s0
	s_mul_i32 s58, s58, s61
	s_add_i32 s0, s0, s58
	s_mul_i32 s5, s5, s61
	s_mul_hi_u32 s58, s59, s5
	s_mul_i32 s60, s59, s5
	s_mul_i32 s63, s61, s0
	s_mul_hi_u32 s5, s61, s5
	s_mul_hi_u32 s62, s61, s0
	s_add_u32 s5, s5, s63
	s_addc_u32 s62, 0, s62
	s_add_u32 s5, s5, s60
	s_mul_hi_u32 s1, s59, s0
	s_addc_u32 s5, s62, s58
	s_addc_u32 s1, s1, 0
	s_mul_i32 s0, s59, s0
	s_add_u32 s0, s5, s0
	s_addc_u32 s5, 0, s1
	s_add_u32 s58, s61, s0
	s_cselect_b64 s[0:1], -1, 0
	s_cmp_lg_u64 s[0:1], 0
	v_add_co_u32_e32 v3, vcc, v6, v16
	s_addc_u32 s5, s59, s5
	v_xor_b32_e32 v3, v3, v16
	v_mad_u64_u32 v[10:11], s[0:1], v3, s5, 0
	v_mul_hi_u32 v13, v3, s58
	v_addc_co_u32_e32 v12, vcc, v7, v16, vcc
	v_xor_b32_e32 v14, v12, v16
	v_add_co_u32_e32 v15, vcc, v13, v10
	v_addc_co_u32_e32 v17, vcc, 0, v11, vcc
	v_mad_u64_u32 v[10:11], s[0:1], v14, s58, 0
	v_mad_u64_u32 v[12:13], s[0:1], v14, s5, 0
	v_add_co_u32_e32 v10, vcc, v15, v10
	v_addc_co_u32_e32 v10, vcc, v17, v11, vcc
	v_addc_co_u32_e32 v11, vcc, 0, v13, vcc
	v_add_co_u32_e32 v12, vcc, v10, v12
	v_addc_co_u32_e32 v13, vcc, 0, v11, vcc
	v_mul_lo_u32 v15, s57, v12
	v_mul_lo_u32 v17, s56, v13
	v_mad_u64_u32 v[10:11], s[0:1], s56, v12, 0
	v_add3_u32 v11, v11, v17, v15
	v_sub_u32_e32 v15, v14, v11
	v_mov_b32_e32 v17, s57
	v_sub_co_u32_e32 v3, vcc, v3, v10
	v_subb_co_u32_e64 v10, s[0:1], v15, v17, vcc
	v_subrev_co_u32_e64 v15, s[0:1], s56, v3
	v_subbrev_co_u32_e64 v10, s[0:1], 0, v10, s[0:1]
	v_cmp_le_u32_e64 s[0:1], s57, v10
	v_cndmask_b32_e64 v17, 0, -1, s[0:1]
	v_cmp_le_u32_e64 s[0:1], s56, v15
	v_cndmask_b32_e64 v15, 0, -1, s[0:1]
	v_cmp_eq_u32_e64 s[0:1], s57, v10
	v_cndmask_b32_e64 v10, v17, v15, s[0:1]
	v_add_co_u32_e64 v15, s[0:1], 2, v12
	v_subb_co_u32_e32 v11, vcc, v14, v11, vcc
	v_addc_co_u32_e64 v17, s[0:1], 0, v13, s[0:1]
	v_cmp_le_u32_e32 vcc, s57, v11
	v_add_co_u32_e64 v18, s[0:1], 1, v12
	v_cndmask_b32_e64 v14, 0, -1, vcc
	v_cmp_le_u32_e32 vcc, s56, v3
	v_addc_co_u32_e64 v19, s[0:1], 0, v13, s[0:1]
	v_cndmask_b32_e64 v3, 0, -1, vcc
	v_cmp_eq_u32_e32 vcc, s57, v11
	v_cmp_ne_u32_e64 s[0:1], 0, v10
	v_cndmask_b32_e32 v3, v14, v3, vcc
	v_cndmask_b32_e64 v10, v19, v17, s[0:1]
	v_cmp_ne_u32_e32 vcc, 0, v3
	v_cndmask_b32_e32 v3, v13, v10, vcc
	v_cndmask_b32_e64 v10, v18, v15, s[0:1]
	v_cndmask_b32_e32 v10, v12, v10, vcc
	v_xor_b32_e32 v11, s4, v16
	v_xor_b32_e32 v10, v10, v11
	;; [unrolled: 1-line block ×3, first 2 shown]
	v_sub_co_u32_e32 v10, vcc, v10, v11
	v_subb_co_u32_e32 v11, vcc, v3, v11, vcc
.LBB3_10:                               ;   in Loop: Header=BB3_4 Depth=1
	s_andn2_saveexec_b64 s[0:1], s[2:3]
	s_cbranch_execz .LBB3_12
; %bb.11:                               ;   in Loop: Header=BB3_4 Depth=1
	v_cvt_f32_u32_e32 v3, s18
	s_sub_i32 s2, 0, s18
	v_rcp_iflag_f32_e32 v3, v3
	v_mul_f32_e32 v3, 0x4f7ffffe, v3
	v_cvt_u32_f32_e32 v3, v3
	v_mul_lo_u32 v10, s2, v3
	v_mul_hi_u32 v10, v3, v10
	v_add_u32_e32 v3, v3, v10
	v_mul_hi_u32 v3, v6, v3
	v_mul_lo_u32 v10, v3, s18
	v_add_u32_e32 v11, 1, v3
	v_sub_u32_e32 v10, v6, v10
	v_subrev_u32_e32 v12, s18, v10
	v_cmp_le_u32_e32 vcc, s18, v10
	v_cndmask_b32_e32 v10, v10, v12, vcc
	v_cndmask_b32_e32 v3, v3, v11, vcc
	v_add_u32_e32 v11, 1, v3
	v_cmp_le_u32_e32 vcc, s18, v10
	v_cndmask_b32_e32 v10, v3, v11, vcc
	v_mov_b32_e32 v11, v2
.LBB3_12:                               ;   in Loop: Header=BB3_4 Depth=1
	s_or_b64 exec, exec, s[0:1]
	v_or_b32_e32 v3, s17, v11
	v_cmp_ne_u64_e32 vcc, 0, v[2:3]
                                        ; implicit-def: $vgpr12_vgpr13
	s_and_saveexec_b64 s[0:1], vcc
	s_xor_b64 s[4:5], exec, s[0:1]
	s_cbranch_execz .LBB3_14
; %bb.13:                               ;   in Loop: Header=BB3_4 Depth=1
	s_ashr_i32 s0, s17, 31
	s_add_u32 s2, s16, s0
	s_mov_b32 s1, s0
	s_addc_u32 s3, s17, s0
	s_xor_b64 s[56:57], s[2:3], s[0:1]
	v_cvt_f32_u32_e32 v3, s56
	v_cvt_f32_u32_e32 v12, s57
	s_sub_u32 s2, 0, s56
	s_subb_u32 s3, 0, s57
	v_mac_f32_e32 v3, 0x4f800000, v12
	v_rcp_f32_e32 v3, v3
	v_mul_f32_e32 v3, 0x5f7ffffc, v3
	v_mul_f32_e32 v12, 0x2f800000, v3
	v_trunc_f32_e32 v12, v12
	v_mac_f32_e32 v3, 0xcf800000, v12
	v_cvt_u32_f32_e32 v12, v12
	v_cvt_u32_f32_e32 v3, v3
	v_readfirstlane_b32 s58, v12
	v_readfirstlane_b32 s0, v3
	s_mul_i32 s1, s2, s58
	s_mul_hi_u32 s60, s2, s0
	s_mul_i32 s59, s3, s0
	s_add_i32 s1, s60, s1
	s_add_i32 s1, s1, s59
	s_mul_i32 s61, s2, s0
	s_mul_i32 s60, s0, s1
	s_mul_hi_u32 s62, s0, s61
	s_mul_hi_u32 s59, s0, s1
	s_add_u32 s60, s62, s60
	s_addc_u32 s59, 0, s59
	s_mul_hi_u32 s63, s58, s61
	s_mul_i32 s61, s58, s61
	s_add_u32 s60, s60, s61
	s_mul_hi_u32 s62, s58, s1
	s_addc_u32 s59, s59, s63
	s_addc_u32 s60, s62, 0
	s_mul_i32 s1, s58, s1
	s_add_u32 s1, s59, s1
	s_addc_u32 s59, 0, s60
	s_add_u32 s60, s0, s1
	s_cselect_b64 s[0:1], -1, 0
	s_cmp_lg_u64 s[0:1], 0
	s_addc_u32 s58, s58, s59
	s_mul_i32 s0, s2, s58
	s_mul_hi_u32 s1, s2, s60
	s_add_i32 s0, s1, s0
	s_mul_i32 s3, s3, s60
	s_add_i32 s0, s0, s3
	s_mul_i32 s2, s2, s60
	s_mul_hi_u32 s3, s58, s2
	s_mul_i32 s59, s58, s2
	s_mul_i32 s62, s60, s0
	s_mul_hi_u32 s2, s60, s2
	s_mul_hi_u32 s61, s60, s0
	s_add_u32 s2, s2, s62
	s_addc_u32 s61, 0, s61
	s_add_u32 s2, s2, s59
	s_mul_hi_u32 s1, s58, s0
	s_addc_u32 s2, s61, s3
	s_addc_u32 s1, s1, 0
	s_mul_i32 s0, s58, s0
	s_add_u32 s0, s2, s0
	s_addc_u32 s2, 0, s1
	s_add_u32 s3, s60, s0
	s_cselect_b64 s[0:1], -1, 0
	v_ashrrev_i32_e32 v3, 31, v11
	s_cmp_lg_u64 s[0:1], 0
	v_add_co_u32_e32 v12, vcc, v10, v3
	s_addc_u32 s2, s58, s2
	v_xor_b32_e32 v17, v12, v3
	v_mad_u64_u32 v[12:13], s[0:1], v17, s2, 0
	v_mul_hi_u32 v15, v17, s3
	v_addc_co_u32_e32 v14, vcc, v11, v3, vcc
	v_xor_b32_e32 v18, v14, v3
	v_add_co_u32_e32 v19, vcc, v15, v12
	v_addc_co_u32_e32 v20, vcc, 0, v13, vcc
	v_mad_u64_u32 v[12:13], s[0:1], v18, s3, 0
	v_mad_u64_u32 v[14:15], s[0:1], v18, s2, 0
	v_add_co_u32_e32 v12, vcc, v19, v12
	v_addc_co_u32_e32 v12, vcc, v20, v13, vcc
	v_addc_co_u32_e32 v13, vcc, 0, v15, vcc
	v_add_co_u32_e32 v12, vcc, v12, v14
	v_addc_co_u32_e32 v13, vcc, 0, v13, vcc
	v_mul_lo_u32 v14, s57, v12
	v_mul_lo_u32 v15, s56, v13
	v_mad_u64_u32 v[12:13], s[0:1], s56, v12, 0
	v_add3_u32 v13, v13, v15, v14
	v_sub_u32_e32 v14, v18, v13
	v_mov_b32_e32 v15, s57
	v_sub_co_u32_e32 v12, vcc, v17, v12
	v_subb_co_u32_e64 v14, s[0:1], v14, v15, vcc
	v_subrev_co_u32_e64 v17, s[0:1], s56, v12
	v_subbrev_co_u32_e64 v19, s[2:3], 0, v14, s[0:1]
	v_cmp_le_u32_e64 s[2:3], s57, v19
	v_cndmask_b32_e64 v20, 0, -1, s[2:3]
	v_cmp_le_u32_e64 s[2:3], s56, v17
	v_subb_co_u32_e64 v14, s[0:1], v14, v15, s[0:1]
	v_cndmask_b32_e64 v21, 0, -1, s[2:3]
	v_cmp_eq_u32_e64 s[2:3], s57, v19
	v_subrev_co_u32_e64 v15, s[0:1], s56, v17
	v_subb_co_u32_e32 v13, vcc, v18, v13, vcc
	v_cndmask_b32_e64 v20, v20, v21, s[2:3]
	v_subbrev_co_u32_e64 v14, s[0:1], 0, v14, s[0:1]
	v_cmp_le_u32_e32 vcc, s57, v13
	v_cmp_ne_u32_e64 s[0:1], 0, v20
	v_cndmask_b32_e64 v18, 0, -1, vcc
	v_cmp_le_u32_e32 vcc, s56, v12
	v_cndmask_b32_e64 v14, v19, v14, s[0:1]
	v_cndmask_b32_e64 v19, 0, -1, vcc
	v_cmp_eq_u32_e32 vcc, s57, v13
	v_cndmask_b32_e32 v18, v18, v19, vcc
	v_cmp_ne_u32_e32 vcc, 0, v18
	v_cndmask_b32_e32 v13, v13, v14, vcc
	v_cndmask_b32_e64 v14, v17, v15, s[0:1]
	v_cndmask_b32_e32 v12, v12, v14, vcc
	v_xor_b32_e32 v12, v12, v3
	v_xor_b32_e32 v13, v13, v3
	v_sub_co_u32_e32 v12, vcc, v12, v3
	v_subb_co_u32_e32 v13, vcc, v13, v3, vcc
.LBB3_14:                               ;   in Loop: Header=BB3_4 Depth=1
	s_andn2_saveexec_b64 s[0:1], s[4:5]
	s_cbranch_execz .LBB3_16
; %bb.15:                               ;   in Loop: Header=BB3_4 Depth=1
	v_cvt_f32_u32_e32 v3, s16
	s_sub_i32 s2, 0, s16
	v_mov_b32_e32 v13, v2
	v_rcp_iflag_f32_e32 v3, v3
	v_mul_f32_e32 v3, 0x4f7ffffe, v3
	v_cvt_u32_f32_e32 v3, v3
	v_mul_lo_u32 v12, s2, v3
	v_mul_hi_u32 v12, v3, v12
	v_add_u32_e32 v3, v3, v12
	v_mul_hi_u32 v3, v10, v3
	v_mul_lo_u32 v3, v3, s16
	v_sub_u32_e32 v3, v10, v3
	v_subrev_u32_e32 v12, s16, v3
	v_cmp_le_u32_e32 vcc, s16, v3
	v_cndmask_b32_e32 v3, v3, v12, vcc
	v_subrev_u32_e32 v12, s16, v3
	v_cmp_le_u32_e32 vcc, s16, v3
	v_cndmask_b32_e32 v12, v3, v12, vcc
.LBB3_16:                               ;   in Loop: Header=BB3_4 Depth=1
	s_or_b64 exec, exec, s[0:1]
	v_or_b32_e32 v3, s33, v7
	v_cmp_ne_u64_e32 vcc, 0, v[2:3]
                                        ; implicit-def: $vgpr14_vgpr15
	s_and_saveexec_b64 s[0:1], vcc
	s_xor_b64 s[2:3], exec, s[0:1]
	s_cbranch_execz .LBB3_18
; %bb.17:                               ;   in Loop: Header=BB3_4 Depth=1
	s_ashr_i32 s4, s33, 31
	s_add_u32 s0, s72, s4
	s_mov_b32 s5, s4
	s_addc_u32 s1, s33, s4
	s_xor_b64 s[56:57], s[0:1], s[4:5]
	v_cvt_f32_u32_e32 v3, s56
	v_cvt_f32_u32_e32 v14, s57
	s_sub_u32 s5, 0, s56
	s_subb_u32 s58, 0, s57
	v_mac_f32_e32 v3, 0x4f800000, v14
	v_rcp_f32_e32 v3, v3
	v_mul_f32_e32 v3, 0x5f7ffffc, v3
	v_mul_f32_e32 v14, 0x2f800000, v3
	v_trunc_f32_e32 v14, v14
	v_mac_f32_e32 v3, 0xcf800000, v14
	v_cvt_u32_f32_e32 v14, v14
	v_cvt_u32_f32_e32 v3, v3
	v_readfirstlane_b32 s59, v14
	v_readfirstlane_b32 s0, v3
	s_mul_i32 s1, s5, s59
	s_mul_hi_u32 s61, s5, s0
	s_mul_i32 s60, s58, s0
	s_add_i32 s1, s61, s1
	s_add_i32 s1, s1, s60
	s_mul_i32 s62, s5, s0
	s_mul_i32 s61, s0, s1
	s_mul_hi_u32 s63, s0, s62
	s_mul_hi_u32 s60, s0, s1
	s_add_u32 s61, s63, s61
	s_addc_u32 s60, 0, s60
	s_mul_hi_u32 s64, s59, s62
	s_mul_i32 s62, s59, s62
	s_add_u32 s61, s61, s62
	s_mul_hi_u32 s63, s59, s1
	s_addc_u32 s60, s60, s64
	s_addc_u32 s61, s63, 0
	s_mul_i32 s1, s59, s1
	s_add_u32 s1, s60, s1
	s_addc_u32 s60, 0, s61
	s_add_u32 s61, s0, s1
	s_cselect_b64 s[0:1], -1, 0
	s_cmp_lg_u64 s[0:1], 0
	s_addc_u32 s59, s59, s60
	s_mul_i32 s0, s5, s59
	s_mul_hi_u32 s1, s5, s61
	s_add_i32 s0, s1, s0
	s_mul_i32 s58, s58, s61
	s_add_i32 s0, s0, s58
	s_mul_i32 s5, s5, s61
	s_mul_hi_u32 s58, s59, s5
	s_mul_i32 s60, s59, s5
	s_mul_i32 s63, s61, s0
	s_mul_hi_u32 s5, s61, s5
	s_mul_hi_u32 s62, s61, s0
	s_add_u32 s5, s5, s63
	s_addc_u32 s62, 0, s62
	s_add_u32 s5, s5, s60
	s_mul_hi_u32 s1, s59, s0
	s_addc_u32 s5, s62, s58
	s_addc_u32 s1, s1, 0
	s_mul_i32 s0, s59, s0
	s_add_u32 s0, s5, s0
	s_addc_u32 s5, 0, s1
	s_add_u32 s58, s61, s0
	s_cselect_b64 s[0:1], -1, 0
	s_cmp_lg_u64 s[0:1], 0
	v_add_co_u32_e32 v3, vcc, v6, v16
	s_addc_u32 s5, s59, s5
	v_xor_b32_e32 v3, v3, v16
	v_mad_u64_u32 v[14:15], s[0:1], v3, s5, 0
	v_mul_hi_u32 v18, v3, s58
	v_addc_co_u32_e32 v17, vcc, v7, v16, vcc
	v_xor_b32_e32 v19, v17, v16
	v_add_co_u32_e32 v20, vcc, v18, v14
	v_addc_co_u32_e32 v21, vcc, 0, v15, vcc
	v_mad_u64_u32 v[14:15], s[0:1], v19, s58, 0
	v_mad_u64_u32 v[17:18], s[0:1], v19, s5, 0
	v_add_co_u32_e32 v14, vcc, v20, v14
	v_addc_co_u32_e32 v14, vcc, v21, v15, vcc
	v_addc_co_u32_e32 v15, vcc, 0, v18, vcc
	v_add_co_u32_e32 v17, vcc, v14, v17
	v_addc_co_u32_e32 v18, vcc, 0, v15, vcc
	v_mul_lo_u32 v20, s57, v17
	v_mul_lo_u32 v21, s56, v18
	v_mad_u64_u32 v[14:15], s[0:1], s56, v17, 0
	v_add3_u32 v15, v15, v21, v20
	v_sub_u32_e32 v20, v19, v15
	v_mov_b32_e32 v21, s57
	v_sub_co_u32_e32 v3, vcc, v3, v14
	v_subb_co_u32_e64 v14, s[0:1], v20, v21, vcc
	v_subrev_co_u32_e64 v20, s[0:1], s56, v3
	v_subbrev_co_u32_e64 v14, s[0:1], 0, v14, s[0:1]
	v_cmp_le_u32_e64 s[0:1], s57, v14
	v_cndmask_b32_e64 v21, 0, -1, s[0:1]
	v_cmp_le_u32_e64 s[0:1], s56, v20
	v_cndmask_b32_e64 v20, 0, -1, s[0:1]
	v_cmp_eq_u32_e64 s[0:1], s57, v14
	v_cndmask_b32_e64 v14, v21, v20, s[0:1]
	v_add_co_u32_e64 v20, s[0:1], 2, v17
	v_subb_co_u32_e32 v15, vcc, v19, v15, vcc
	v_addc_co_u32_e64 v21, s[0:1], 0, v18, s[0:1]
	v_cmp_le_u32_e32 vcc, s57, v15
	v_add_co_u32_e64 v22, s[0:1], 1, v17
	v_cndmask_b32_e64 v19, 0, -1, vcc
	v_cmp_le_u32_e32 vcc, s56, v3
	v_addc_co_u32_e64 v23, s[0:1], 0, v18, s[0:1]
	v_cndmask_b32_e64 v3, 0, -1, vcc
	v_cmp_eq_u32_e32 vcc, s57, v15
	v_cmp_ne_u32_e64 s[0:1], 0, v14
	v_cndmask_b32_e32 v3, v19, v3, vcc
	v_cndmask_b32_e64 v14, v23, v21, s[0:1]
	v_cmp_ne_u32_e32 vcc, 0, v3
	v_cndmask_b32_e32 v3, v18, v14, vcc
	v_cndmask_b32_e64 v14, v22, v20, s[0:1]
	v_cndmask_b32_e32 v14, v17, v14, vcc
	v_xor_b32_e32 v15, s4, v16
	v_xor_b32_e32 v14, v14, v15
	;; [unrolled: 1-line block ×3, first 2 shown]
	v_sub_co_u32_e32 v14, vcc, v14, v15
	v_subb_co_u32_e32 v15, vcc, v3, v15, vcc
.LBB3_18:                               ;   in Loop: Header=BB3_4 Depth=1
	s_andn2_saveexec_b64 s[0:1], s[2:3]
	s_cbranch_execz .LBB3_20
; %bb.19:                               ;   in Loop: Header=BB3_4 Depth=1
	v_cvt_f32_u32_e32 v3, s72
	s_sub_i32 s2, 0, s72
	v_rcp_iflag_f32_e32 v3, v3
	v_mul_f32_e32 v3, 0x4f7ffffe, v3
	v_cvt_u32_f32_e32 v3, v3
	v_mul_lo_u32 v14, s2, v3
	v_mul_hi_u32 v14, v3, v14
	v_add_u32_e32 v3, v3, v14
	v_mul_hi_u32 v3, v6, v3
	v_mul_lo_u32 v14, v3, s72
	v_add_u32_e32 v15, 1, v3
	v_sub_u32_e32 v14, v6, v14
	v_subrev_u32_e32 v16, s72, v14
	v_cmp_le_u32_e32 vcc, s72, v14
	v_cndmask_b32_e32 v14, v14, v16, vcc
	v_cndmask_b32_e32 v3, v3, v15, vcc
	v_add_u32_e32 v15, 1, v3
	v_cmp_le_u32_e32 vcc, s72, v14
	v_cndmask_b32_e32 v14, v3, v15, vcc
	v_mov_b32_e32 v15, v2
.LBB3_20:                               ;   in Loop: Header=BB3_4 Depth=1
	s_or_b64 exec, exec, s[0:1]
	v_mul_lo_u32 v3, v11, s18
	v_mul_lo_u32 v11, v10, s19
	v_mad_u64_u32 v[16:17], s[0:1], v10, s18, 0
	v_add3_u32 v17, v17, v11, v3
	v_sub_co_u32_e32 v3, vcc, v6, v16
	v_subb_co_u32_e32 v10, vcc, v7, v17, vcc
	v_mov_b32_e32 v11, s39
	v_add_co_u32_e32 v18, vcc, s38, v3
	v_addc_co_u32_e32 v19, vcc, v10, v11, vcc
	v_cmp_lt_i64_e32 vcc, s[14:15], v[18:19]
	v_mov_b32_e32 v10, 0
	v_mov_b32_e32 v11, 0
	s_and_saveexec_b64 s[2:3], vcc
	s_cbranch_execz .LBB3_26
; %bb.21:                               ;   in Loop: Header=BB3_4 Depth=1
	v_mov_b32_e32 v3, s35
	v_add_co_u32_e32 v20, vcc, s34, v18
	v_addc_co_u32_e32 v21, vcc, v19, v3, vcc
	v_or_b32_e32 v3, s43, v21
	v_cmp_ne_u64_e32 vcc, 0, v[2:3]
                                        ; implicit-def: $vgpr10_vgpr11
	s_and_saveexec_b64 s[0:1], vcc
	s_xor_b64 s[4:5], exec, s[0:1]
	s_cbranch_execz .LBB3_23
; %bb.22:                               ;   in Loop: Header=BB3_4 Depth=1
	s_ashr_i32 s56, s43, 31
	s_add_u32 s0, s42, s56
	s_mov_b32 s57, s56
	s_addc_u32 s1, s43, s56
	s_xor_b64 s[58:59], s[0:1], s[56:57]
	v_cvt_f32_u32_e32 v3, s58
	v_cvt_f32_u32_e32 v10, s59
	s_sub_u32 s57, 0, s58
	s_subb_u32 s60, 0, s59
	v_mac_f32_e32 v3, 0x4f800000, v10
	v_rcp_f32_e32 v3, v3
	v_mul_f32_e32 v3, 0x5f7ffffc, v3
	v_mul_f32_e32 v10, 0x2f800000, v3
	v_trunc_f32_e32 v10, v10
	v_mac_f32_e32 v3, 0xcf800000, v10
	v_cvt_u32_f32_e32 v10, v10
	v_cvt_u32_f32_e32 v3, v3
	v_readfirstlane_b32 s61, v10
	v_readfirstlane_b32 s0, v3
	s_mul_i32 s1, s57, s61
	s_mul_hi_u32 s63, s57, s0
	s_mul_i32 s62, s60, s0
	s_add_i32 s1, s63, s1
	s_add_i32 s1, s1, s62
	s_mul_i32 s64, s57, s0
	s_mul_i32 s63, s0, s1
	s_mul_hi_u32 s65, s0, s64
	s_mul_hi_u32 s62, s0, s1
	s_add_u32 s63, s65, s63
	s_addc_u32 s62, 0, s62
	s_mul_hi_u32 s66, s61, s64
	s_mul_i32 s64, s61, s64
	s_add_u32 s63, s63, s64
	s_mul_hi_u32 s65, s61, s1
	s_addc_u32 s62, s62, s66
	s_addc_u32 s63, s65, 0
	s_mul_i32 s1, s61, s1
	s_add_u32 s1, s62, s1
	s_addc_u32 s62, 0, s63
	s_add_u32 s63, s0, s1
	s_cselect_b64 s[0:1], -1, 0
	s_cmp_lg_u64 s[0:1], 0
	s_addc_u32 s61, s61, s62
	s_mul_i32 s0, s57, s61
	s_mul_hi_u32 s1, s57, s63
	s_add_i32 s0, s1, s0
	s_mul_i32 s60, s60, s63
	s_add_i32 s0, s0, s60
	s_mul_i32 s57, s57, s63
	s_mul_hi_u32 s60, s61, s57
	s_mul_i32 s62, s61, s57
	s_mul_i32 s65, s63, s0
	s_mul_hi_u32 s57, s63, s57
	s_mul_hi_u32 s64, s63, s0
	s_add_u32 s57, s57, s65
	s_addc_u32 s64, 0, s64
	s_add_u32 s57, s57, s62
	s_mul_hi_u32 s1, s61, s0
	s_addc_u32 s57, s64, s60
	s_addc_u32 s1, s1, 0
	s_mul_i32 s0, s61, s0
	s_add_u32 s0, s57, s0
	s_addc_u32 s57, 0, s1
	s_add_u32 s60, s63, s0
	s_cselect_b64 s[0:1], -1, 0
	v_ashrrev_i32_e32 v3, 31, v21
	s_cmp_lg_u64 s[0:1], 0
	v_add_co_u32_e32 v10, vcc, v20, v3
	s_addc_u32 s57, s61, s57
	v_xor_b32_e32 v22, v10, v3
	v_addc_co_u32_e32 v20, vcc, v21, v3, vcc
	v_mad_u64_u32 v[10:11], s[0:1], v22, s57, 0
	v_mul_hi_u32 v21, v22, s60
	v_xor_b32_e32 v23, v20, v3
	v_xor_b32_e32 v3, s56, v3
	v_add_co_u32_e32 v24, vcc, v21, v10
	v_addc_co_u32_e32 v25, vcc, 0, v11, vcc
	v_mad_u64_u32 v[10:11], s[0:1], v23, s60, 0
	v_mad_u64_u32 v[20:21], s[0:1], v23, s57, 0
	v_add_co_u32_e32 v10, vcc, v24, v10
	v_addc_co_u32_e32 v10, vcc, v25, v11, vcc
	v_addc_co_u32_e32 v11, vcc, 0, v21, vcc
	v_add_co_u32_e32 v20, vcc, v10, v20
	v_addc_co_u32_e32 v21, vcc, 0, v11, vcc
	v_mul_lo_u32 v24, s59, v20
	v_mul_lo_u32 v25, s58, v21
	v_mad_u64_u32 v[10:11], s[0:1], s58, v20, 0
	v_add3_u32 v11, v11, v25, v24
	v_sub_u32_e32 v24, v23, v11
	v_mov_b32_e32 v25, s59
	v_sub_co_u32_e32 v10, vcc, v22, v10
	v_subb_co_u32_e64 v22, s[0:1], v24, v25, vcc
	v_subrev_co_u32_e64 v24, s[0:1], s58, v10
	v_subbrev_co_u32_e64 v22, s[0:1], 0, v22, s[0:1]
	v_cmp_le_u32_e64 s[0:1], s59, v22
	v_cndmask_b32_e64 v25, 0, -1, s[0:1]
	v_cmp_le_u32_e64 s[0:1], s58, v24
	v_cndmask_b32_e64 v24, 0, -1, s[0:1]
	v_cmp_eq_u32_e64 s[0:1], s59, v22
	v_cndmask_b32_e64 v22, v25, v24, s[0:1]
	v_add_co_u32_e64 v24, s[0:1], 2, v20
	v_subb_co_u32_e32 v11, vcc, v23, v11, vcc
	v_addc_co_u32_e64 v25, s[0:1], 0, v21, s[0:1]
	v_cmp_le_u32_e32 vcc, s59, v11
	v_add_co_u32_e64 v26, s[0:1], 1, v20
	v_cndmask_b32_e64 v23, 0, -1, vcc
	v_cmp_le_u32_e32 vcc, s58, v10
	v_addc_co_u32_e64 v27, s[0:1], 0, v21, s[0:1]
	v_cndmask_b32_e64 v10, 0, -1, vcc
	v_cmp_eq_u32_e32 vcc, s59, v11
	v_cmp_ne_u32_e64 s[0:1], 0, v22
	v_cndmask_b32_e32 v10, v23, v10, vcc
	v_cndmask_b32_e64 v22, v27, v25, s[0:1]
	v_cmp_ne_u32_e32 vcc, 0, v10
	v_cndmask_b32_e64 v11, v26, v24, s[0:1]
	v_cndmask_b32_e32 v10, v21, v22, vcc
	v_cndmask_b32_e32 v11, v20, v11, vcc
	v_xor_b32_e32 v20, v10, v3
	v_xor_b32_e32 v10, v11, v3
	v_sub_co_u32_e32 v10, vcc, v10, v3
	v_subb_co_u32_e32 v11, vcc, v20, v3, vcc
                                        ; implicit-def: $vgpr20
.LBB3_23:                               ;   in Loop: Header=BB3_4 Depth=1
	s_andn2_saveexec_b64 s[0:1], s[4:5]
	s_cbranch_execz .LBB3_25
; %bb.24:                               ;   in Loop: Header=BB3_4 Depth=1
	v_cvt_f32_u32_e32 v3, s42
	s_sub_i32 s4, 0, s42
	v_rcp_iflag_f32_e32 v3, v3
	v_mul_f32_e32 v3, 0x4f7ffffe, v3
	v_cvt_u32_f32_e32 v3, v3
	v_mul_lo_u32 v10, s4, v3
	v_mul_hi_u32 v10, v3, v10
	v_add_u32_e32 v3, v3, v10
	v_mul_hi_u32 v3, v20, v3
	v_mul_lo_u32 v10, v3, s42
	v_add_u32_e32 v11, 1, v3
	v_sub_u32_e32 v10, v20, v10
	v_subrev_u32_e32 v20, s42, v10
	v_cmp_le_u32_e32 vcc, s42, v10
	v_cndmask_b32_e32 v10, v10, v20, vcc
	v_cndmask_b32_e32 v3, v3, v11, vcc
	v_add_u32_e32 v11, 1, v3
	v_cmp_le_u32_e32 vcc, s42, v10
	v_cndmask_b32_e32 v10, v3, v11, vcc
	v_mov_b32_e32 v11, v2
.LBB3_25:                               ;   in Loop: Header=BB3_4 Depth=1
	s_or_b64 exec, exec, s[0:1]
	v_add_co_u32_e32 v10, vcc, 1, v10
	v_addc_co_u32_e32 v11, vcc, 0, v11, vcc
.LBB3_26:                               ;   in Loop: Header=BB3_4 Depth=1
	s_or_b64 exec, exec, s[2:3]
	v_or_b32_e32 v3, s43, v19
	v_cmp_ne_u64_e32 vcc, 0, v[2:3]
                                        ; implicit-def: $vgpr24_vgpr25
	s_and_saveexec_b64 s[0:1], vcc
	s_xor_b64 s[2:3], exec, s[0:1]
	s_cbranch_execz .LBB3_28
; %bb.27:                               ;   in Loop: Header=BB3_4 Depth=1
	s_ashr_i32 s4, s43, 31
	s_add_u32 s0, s42, s4
	s_mov_b32 s5, s4
	s_addc_u32 s1, s43, s4
	s_xor_b64 s[56:57], s[0:1], s[4:5]
	v_cvt_f32_u32_e32 v3, s56
	v_cvt_f32_u32_e32 v20, s57
	s_sub_u32 s5, 0, s56
	s_subb_u32 s58, 0, s57
	v_mac_f32_e32 v3, 0x4f800000, v20
	v_rcp_f32_e32 v3, v3
	v_mul_f32_e32 v3, 0x5f7ffffc, v3
	v_mul_f32_e32 v20, 0x2f800000, v3
	v_trunc_f32_e32 v20, v20
	v_mac_f32_e32 v3, 0xcf800000, v20
	v_cvt_u32_f32_e32 v20, v20
	v_cvt_u32_f32_e32 v3, v3
	v_readfirstlane_b32 s59, v20
	v_readfirstlane_b32 s0, v3
	s_mul_i32 s1, s5, s59
	s_mul_hi_u32 s61, s5, s0
	s_mul_i32 s60, s58, s0
	s_add_i32 s1, s61, s1
	s_add_i32 s1, s1, s60
	s_mul_i32 s62, s5, s0
	s_mul_i32 s61, s0, s1
	s_mul_hi_u32 s63, s0, s62
	s_mul_hi_u32 s60, s0, s1
	s_add_u32 s61, s63, s61
	s_addc_u32 s60, 0, s60
	s_mul_hi_u32 s64, s59, s62
	s_mul_i32 s62, s59, s62
	s_add_u32 s61, s61, s62
	s_mul_hi_u32 s63, s59, s1
	s_addc_u32 s60, s60, s64
	s_addc_u32 s61, s63, 0
	s_mul_i32 s1, s59, s1
	s_add_u32 s1, s60, s1
	s_addc_u32 s60, 0, s61
	s_add_u32 s61, s0, s1
	s_cselect_b64 s[0:1], -1, 0
	s_cmp_lg_u64 s[0:1], 0
	s_addc_u32 s59, s59, s60
	s_mul_i32 s0, s5, s59
	s_mul_hi_u32 s1, s5, s61
	s_add_i32 s0, s1, s0
	s_mul_i32 s58, s58, s61
	s_add_i32 s0, s0, s58
	s_mul_i32 s5, s5, s61
	s_mul_hi_u32 s58, s59, s5
	s_mul_i32 s60, s59, s5
	s_mul_i32 s63, s61, s0
	s_mul_hi_u32 s5, s61, s5
	s_mul_hi_u32 s62, s61, s0
	s_add_u32 s5, s5, s63
	s_addc_u32 s62, 0, s62
	s_add_u32 s5, s5, s60
	s_mul_hi_u32 s1, s59, s0
	s_addc_u32 s5, s62, s58
	s_addc_u32 s1, s1, 0
	s_mul_i32 s0, s59, s0
	s_add_u32 s0, s5, s0
	s_addc_u32 s5, 0, s1
	s_add_u32 s58, s61, s0
	s_cselect_b64 s[0:1], -1, 0
	v_ashrrev_i32_e32 v3, 31, v19
	s_cmp_lg_u64 s[0:1], 0
	v_add_co_u32_e32 v18, vcc, v18, v3
	s_addc_u32 s5, s59, s5
	v_xor_b32_e32 v22, v18, v3
	v_addc_co_u32_e32 v20, vcc, v19, v3, vcc
	v_mad_u64_u32 v[18:19], s[0:1], v22, s5, 0
	v_mul_hi_u32 v21, v22, s58
	v_xor_b32_e32 v23, v20, v3
	v_xor_b32_e32 v3, s4, v3
	v_add_co_u32_e32 v24, vcc, v21, v18
	v_addc_co_u32_e32 v25, vcc, 0, v19, vcc
	v_mad_u64_u32 v[18:19], s[0:1], v23, s58, 0
	v_mad_u64_u32 v[20:21], s[0:1], v23, s5, 0
	v_add_co_u32_e32 v18, vcc, v24, v18
	v_addc_co_u32_e32 v18, vcc, v25, v19, vcc
	v_addc_co_u32_e32 v19, vcc, 0, v21, vcc
	v_add_co_u32_e32 v20, vcc, v18, v20
	v_addc_co_u32_e32 v21, vcc, 0, v19, vcc
	v_mul_lo_u32 v24, s57, v20
	v_mul_lo_u32 v25, s56, v21
	v_mad_u64_u32 v[18:19], s[0:1], s56, v20, 0
	v_add3_u32 v19, v19, v25, v24
	v_sub_u32_e32 v24, v23, v19
	v_mov_b32_e32 v25, s57
	v_sub_co_u32_e32 v18, vcc, v22, v18
	v_subb_co_u32_e64 v22, s[0:1], v24, v25, vcc
	v_subrev_co_u32_e64 v24, s[0:1], s56, v18
	v_subbrev_co_u32_e64 v22, s[0:1], 0, v22, s[0:1]
	v_cmp_le_u32_e64 s[0:1], s57, v22
	v_cndmask_b32_e64 v25, 0, -1, s[0:1]
	v_cmp_le_u32_e64 s[0:1], s56, v24
	v_cndmask_b32_e64 v24, 0, -1, s[0:1]
	v_cmp_eq_u32_e64 s[0:1], s57, v22
	v_cndmask_b32_e64 v22, v25, v24, s[0:1]
	v_add_co_u32_e64 v24, s[0:1], 2, v20
	v_subb_co_u32_e32 v19, vcc, v23, v19, vcc
	v_addc_co_u32_e64 v25, s[0:1], 0, v21, s[0:1]
	v_cmp_le_u32_e32 vcc, s57, v19
	v_add_co_u32_e64 v26, s[0:1], 1, v20
	v_cndmask_b32_e64 v23, 0, -1, vcc
	v_cmp_le_u32_e32 vcc, s56, v18
	v_addc_co_u32_e64 v27, s[0:1], 0, v21, s[0:1]
	v_cndmask_b32_e64 v18, 0, -1, vcc
	v_cmp_eq_u32_e32 vcc, s57, v19
	v_cmp_ne_u32_e64 s[0:1], 0, v22
	v_cndmask_b32_e32 v18, v23, v18, vcc
	v_cmp_ne_u32_e32 vcc, 0, v18
	v_cndmask_b32_e64 v19, v26, v24, s[0:1]
	v_cndmask_b32_e64 v22, v27, v25, s[0:1]
	v_cndmask_b32_e32 v19, v20, v19, vcc
	v_cndmask_b32_e32 v18, v21, v22, vcc
	v_xor_b32_e32 v19, v19, v3
	v_xor_b32_e32 v18, v18, v3
	v_sub_co_u32_e32 v24, vcc, v19, v3
	v_subb_co_u32_e32 v25, vcc, v18, v3, vcc
                                        ; implicit-def: $vgpr18
.LBB3_28:                               ;   in Loop: Header=BB3_4 Depth=1
	s_andn2_saveexec_b64 s[0:1], s[2:3]
	s_cbranch_execz .LBB3_30
; %bb.29:                               ;   in Loop: Header=BB3_4 Depth=1
	v_cvt_f32_u32_e32 v3, s42
	s_sub_i32 s2, 0, s42
	v_mov_b32_e32 v25, v2
	v_rcp_iflag_f32_e32 v3, v3
	v_mul_f32_e32 v3, 0x4f7ffffe, v3
	v_cvt_u32_f32_e32 v3, v3
	v_mul_lo_u32 v19, s2, v3
	v_mul_hi_u32 v19, v3, v19
	v_add_u32_e32 v3, v3, v19
	v_mul_hi_u32 v3, v18, v3
	v_mul_lo_u32 v19, v3, s42
	v_add_u32_e32 v20, 1, v3
	v_sub_u32_e32 v18, v18, v19
	v_subrev_u32_e32 v19, s42, v18
	v_cmp_le_u32_e32 vcc, s42, v18
	v_cndmask_b32_e32 v18, v18, v19, vcc
	v_cndmask_b32_e32 v3, v3, v20, vcc
	v_add_u32_e32 v19, 1, v3
	v_cmp_le_u32_e32 vcc, s42, v18
	v_cndmask_b32_e32 v24, v3, v19, vcc
.LBB3_30:                               ;   in Loop: Header=BB3_4 Depth=1
	s_or_b64 exec, exec, s[0:1]
	v_mov_b32_e32 v3, s37
	v_add_co_u32_e32 v12, vcc, s36, v12
	v_addc_co_u32_e32 v13, vcc, v13, v3, vcc
	v_cmp_lt_i64_e32 vcc, s[28:29], v[12:13]
	v_mov_b32_e32 v18, 0
	v_mov_b32_e32 v19, 0
	s_and_saveexec_b64 s[2:3], vcc
	s_cbranch_execz .LBB3_36
; %bb.31:                               ;   in Loop: Header=BB3_4 Depth=1
	v_mov_b32_e32 v3, s31
	v_add_co_u32_e32 v20, vcc, s30, v12
	v_addc_co_u32_e32 v21, vcc, v13, v3, vcc
	v_or_b32_e32 v3, s41, v21
	v_cmp_ne_u64_e32 vcc, 0, v[2:3]
                                        ; implicit-def: $vgpr18_vgpr19
	s_and_saveexec_b64 s[0:1], vcc
	s_xor_b64 s[4:5], exec, s[0:1]
	s_cbranch_execz .LBB3_33
; %bb.32:                               ;   in Loop: Header=BB3_4 Depth=1
	s_ashr_i32 s56, s41, 31
	s_add_u32 s0, s40, s56
	s_mov_b32 s57, s56
	s_addc_u32 s1, s41, s56
	s_xor_b64 s[58:59], s[0:1], s[56:57]
	v_cvt_f32_u32_e32 v3, s58
	v_cvt_f32_u32_e32 v18, s59
	s_sub_u32 s57, 0, s58
	s_subb_u32 s60, 0, s59
	v_mac_f32_e32 v3, 0x4f800000, v18
	v_rcp_f32_e32 v3, v3
	v_mul_f32_e32 v3, 0x5f7ffffc, v3
	v_mul_f32_e32 v18, 0x2f800000, v3
	v_trunc_f32_e32 v18, v18
	v_mac_f32_e32 v3, 0xcf800000, v18
	v_cvt_u32_f32_e32 v18, v18
	v_cvt_u32_f32_e32 v3, v3
	v_readfirstlane_b32 s61, v18
	v_readfirstlane_b32 s0, v3
	s_mul_i32 s1, s57, s61
	s_mul_hi_u32 s63, s57, s0
	s_mul_i32 s62, s60, s0
	s_add_i32 s1, s63, s1
	s_add_i32 s1, s1, s62
	s_mul_i32 s64, s57, s0
	s_mul_i32 s63, s0, s1
	s_mul_hi_u32 s65, s0, s64
	s_mul_hi_u32 s62, s0, s1
	s_add_u32 s63, s65, s63
	s_addc_u32 s62, 0, s62
	s_mul_hi_u32 s66, s61, s64
	s_mul_i32 s64, s61, s64
	s_add_u32 s63, s63, s64
	s_mul_hi_u32 s65, s61, s1
	s_addc_u32 s62, s62, s66
	s_addc_u32 s63, s65, 0
	s_mul_i32 s1, s61, s1
	s_add_u32 s1, s62, s1
	s_addc_u32 s62, 0, s63
	s_add_u32 s63, s0, s1
	s_cselect_b64 s[0:1], -1, 0
	s_cmp_lg_u64 s[0:1], 0
	s_addc_u32 s61, s61, s62
	s_mul_i32 s0, s57, s61
	s_mul_hi_u32 s1, s57, s63
	s_add_i32 s0, s1, s0
	s_mul_i32 s60, s60, s63
	s_add_i32 s0, s0, s60
	s_mul_i32 s57, s57, s63
	s_mul_hi_u32 s60, s61, s57
	s_mul_i32 s62, s61, s57
	s_mul_i32 s65, s63, s0
	s_mul_hi_u32 s57, s63, s57
	s_mul_hi_u32 s64, s63, s0
	s_add_u32 s57, s57, s65
	s_addc_u32 s64, 0, s64
	s_add_u32 s57, s57, s62
	s_mul_hi_u32 s1, s61, s0
	s_addc_u32 s57, s64, s60
	s_addc_u32 s1, s1, 0
	s_mul_i32 s0, s61, s0
	s_add_u32 s0, s57, s0
	s_addc_u32 s57, 0, s1
	s_add_u32 s60, s63, s0
	s_cselect_b64 s[0:1], -1, 0
	v_ashrrev_i32_e32 v3, 31, v21
	s_cmp_lg_u64 s[0:1], 0
	v_add_co_u32_e32 v18, vcc, v20, v3
	s_addc_u32 s57, s61, s57
	v_xor_b32_e32 v22, v18, v3
	v_addc_co_u32_e32 v20, vcc, v21, v3, vcc
	v_mad_u64_u32 v[18:19], s[0:1], v22, s57, 0
	v_mul_hi_u32 v21, v22, s60
	v_xor_b32_e32 v23, v20, v3
	v_xor_b32_e32 v3, s56, v3
	v_add_co_u32_e32 v26, vcc, v21, v18
	v_addc_co_u32_e32 v27, vcc, 0, v19, vcc
	v_mad_u64_u32 v[18:19], s[0:1], v23, s60, 0
	v_mad_u64_u32 v[20:21], s[0:1], v23, s57, 0
	v_add_co_u32_e32 v18, vcc, v26, v18
	v_addc_co_u32_e32 v18, vcc, v27, v19, vcc
	v_addc_co_u32_e32 v19, vcc, 0, v21, vcc
	v_add_co_u32_e32 v20, vcc, v18, v20
	v_addc_co_u32_e32 v21, vcc, 0, v19, vcc
	v_mul_lo_u32 v26, s59, v20
	v_mul_lo_u32 v27, s58, v21
	v_mad_u64_u32 v[18:19], s[0:1], s58, v20, 0
	v_add3_u32 v19, v19, v27, v26
	v_sub_u32_e32 v26, v23, v19
	v_mov_b32_e32 v27, s59
	v_sub_co_u32_e32 v18, vcc, v22, v18
	v_subb_co_u32_e64 v22, s[0:1], v26, v27, vcc
	v_subrev_co_u32_e64 v26, s[0:1], s58, v18
	v_subbrev_co_u32_e64 v22, s[0:1], 0, v22, s[0:1]
	v_cmp_le_u32_e64 s[0:1], s59, v22
	v_cndmask_b32_e64 v27, 0, -1, s[0:1]
	v_cmp_le_u32_e64 s[0:1], s58, v26
	v_cndmask_b32_e64 v26, 0, -1, s[0:1]
	v_cmp_eq_u32_e64 s[0:1], s59, v22
	v_cndmask_b32_e64 v22, v27, v26, s[0:1]
	v_add_co_u32_e64 v26, s[0:1], 2, v20
	v_subb_co_u32_e32 v19, vcc, v23, v19, vcc
	v_addc_co_u32_e64 v27, s[0:1], 0, v21, s[0:1]
	v_cmp_le_u32_e32 vcc, s59, v19
	v_add_co_u32_e64 v28, s[0:1], 1, v20
	v_cndmask_b32_e64 v23, 0, -1, vcc
	v_cmp_le_u32_e32 vcc, s58, v18
	v_addc_co_u32_e64 v29, s[0:1], 0, v21, s[0:1]
	v_cndmask_b32_e64 v18, 0, -1, vcc
	v_cmp_eq_u32_e32 vcc, s59, v19
	v_cmp_ne_u32_e64 s[0:1], 0, v22
	v_cndmask_b32_e32 v18, v23, v18, vcc
	v_cndmask_b32_e64 v22, v29, v27, s[0:1]
	v_cmp_ne_u32_e32 vcc, 0, v18
	v_cndmask_b32_e64 v19, v28, v26, s[0:1]
	v_cndmask_b32_e32 v18, v21, v22, vcc
	v_cndmask_b32_e32 v19, v20, v19, vcc
	v_xor_b32_e32 v20, v18, v3
	v_xor_b32_e32 v18, v19, v3
	v_sub_co_u32_e32 v18, vcc, v18, v3
	v_subb_co_u32_e32 v19, vcc, v20, v3, vcc
                                        ; implicit-def: $vgpr20
.LBB3_33:                               ;   in Loop: Header=BB3_4 Depth=1
	s_andn2_saveexec_b64 s[0:1], s[4:5]
	s_cbranch_execz .LBB3_35
; %bb.34:                               ;   in Loop: Header=BB3_4 Depth=1
	v_cvt_f32_u32_e32 v3, s40
	s_sub_i32 s4, 0, s40
	v_rcp_iflag_f32_e32 v3, v3
	v_mul_f32_e32 v3, 0x4f7ffffe, v3
	v_cvt_u32_f32_e32 v3, v3
	v_mul_lo_u32 v18, s4, v3
	v_mul_hi_u32 v18, v3, v18
	v_add_u32_e32 v3, v3, v18
	v_mul_hi_u32 v3, v20, v3
	v_mul_lo_u32 v18, v3, s40
	v_add_u32_e32 v19, 1, v3
	v_sub_u32_e32 v18, v20, v18
	v_subrev_u32_e32 v20, s40, v18
	v_cmp_le_u32_e32 vcc, s40, v18
	v_cndmask_b32_e32 v18, v18, v20, vcc
	v_cndmask_b32_e32 v3, v3, v19, vcc
	v_add_u32_e32 v19, 1, v3
	v_cmp_le_u32_e32 vcc, s40, v18
	v_cndmask_b32_e32 v18, v3, v19, vcc
	v_mov_b32_e32 v19, v2
.LBB3_35:                               ;   in Loop: Header=BB3_4 Depth=1
	s_or_b64 exec, exec, s[0:1]
	v_add_co_u32_e32 v18, vcc, 1, v18
	v_addc_co_u32_e32 v19, vcc, 0, v19, vcc
.LBB3_36:                               ;   in Loop: Header=BB3_4 Depth=1
	s_or_b64 exec, exec, s[2:3]
	v_or_b32_e32 v3, s41, v13
	v_cmp_ne_u64_e32 vcc, 0, v[2:3]
                                        ; implicit-def: $vgpr20_vgpr21
	s_and_saveexec_b64 s[0:1], vcc
	s_xor_b64 s[2:3], exec, s[0:1]
	s_cbranch_execz .LBB3_38
; %bb.37:                               ;   in Loop: Header=BB3_4 Depth=1
	s_ashr_i32 s4, s41, 31
	s_add_u32 s0, s40, s4
	s_mov_b32 s5, s4
	s_addc_u32 s1, s41, s4
	s_xor_b64 s[56:57], s[0:1], s[4:5]
	v_cvt_f32_u32_e32 v3, s56
	v_cvt_f32_u32_e32 v20, s57
	s_sub_u32 s5, 0, s56
	s_subb_u32 s58, 0, s57
	v_mac_f32_e32 v3, 0x4f800000, v20
	v_rcp_f32_e32 v3, v3
	v_mul_f32_e32 v3, 0x5f7ffffc, v3
	v_mul_f32_e32 v20, 0x2f800000, v3
	v_trunc_f32_e32 v20, v20
	v_mac_f32_e32 v3, 0xcf800000, v20
	v_cvt_u32_f32_e32 v20, v20
	v_cvt_u32_f32_e32 v3, v3
	v_readfirstlane_b32 s59, v20
	v_readfirstlane_b32 s0, v3
	s_mul_i32 s1, s5, s59
	s_mul_hi_u32 s61, s5, s0
	s_mul_i32 s60, s58, s0
	s_add_i32 s1, s61, s1
	s_add_i32 s1, s1, s60
	s_mul_i32 s62, s5, s0
	s_mul_i32 s61, s0, s1
	s_mul_hi_u32 s63, s0, s62
	s_mul_hi_u32 s60, s0, s1
	s_add_u32 s61, s63, s61
	s_addc_u32 s60, 0, s60
	s_mul_hi_u32 s64, s59, s62
	s_mul_i32 s62, s59, s62
	s_add_u32 s61, s61, s62
	s_mul_hi_u32 s63, s59, s1
	s_addc_u32 s60, s60, s64
	s_addc_u32 s61, s63, 0
	s_mul_i32 s1, s59, s1
	s_add_u32 s1, s60, s1
	s_addc_u32 s60, 0, s61
	s_add_u32 s61, s0, s1
	s_cselect_b64 s[0:1], -1, 0
	s_cmp_lg_u64 s[0:1], 0
	s_addc_u32 s59, s59, s60
	s_mul_i32 s0, s5, s59
	s_mul_hi_u32 s1, s5, s61
	s_add_i32 s0, s1, s0
	s_mul_i32 s58, s58, s61
	s_add_i32 s0, s0, s58
	s_mul_i32 s5, s5, s61
	s_mul_hi_u32 s58, s59, s5
	s_mul_i32 s60, s59, s5
	s_mul_i32 s63, s61, s0
	s_mul_hi_u32 s5, s61, s5
	s_mul_hi_u32 s62, s61, s0
	s_add_u32 s5, s5, s63
	s_addc_u32 s62, 0, s62
	s_add_u32 s5, s5, s60
	s_mul_hi_u32 s1, s59, s0
	s_addc_u32 s5, s62, s58
	s_addc_u32 s1, s1, 0
	s_mul_i32 s0, s59, s0
	s_add_u32 s0, s5, s0
	s_addc_u32 s5, 0, s1
	s_add_u32 s58, s61, s0
	s_cselect_b64 s[0:1], -1, 0
	v_ashrrev_i32_e32 v3, 31, v13
	s_cmp_lg_u64 s[0:1], 0
	v_add_co_u32_e32 v20, vcc, v12, v3
	s_addc_u32 s5, s59, s5
	v_xor_b32_e32 v26, v20, v3
	v_mad_u64_u32 v[20:21], s[0:1], v26, s5, 0
	v_mul_hi_u32 v23, v26, s58
	v_addc_co_u32_e32 v22, vcc, v13, v3, vcc
	v_xor_b32_e32 v27, v22, v3
	v_add_co_u32_e32 v28, vcc, v23, v20
	v_addc_co_u32_e32 v29, vcc, 0, v21, vcc
	v_mad_u64_u32 v[20:21], s[0:1], v27, s58, 0
	v_mad_u64_u32 v[22:23], s[0:1], v27, s5, 0
	v_add_co_u32_e32 v20, vcc, v28, v20
	v_addc_co_u32_e32 v20, vcc, v29, v21, vcc
	v_addc_co_u32_e32 v21, vcc, 0, v23, vcc
	v_add_co_u32_e32 v22, vcc, v20, v22
	v_addc_co_u32_e32 v23, vcc, 0, v21, vcc
	v_mul_lo_u32 v28, s57, v22
	v_mul_lo_u32 v29, s56, v23
	v_mad_u64_u32 v[20:21], s[0:1], s56, v22, 0
	v_xor_b32_e32 v3, s4, v3
	v_add3_u32 v21, v21, v29, v28
	v_sub_u32_e32 v28, v27, v21
	v_mov_b32_e32 v29, s57
	v_sub_co_u32_e32 v20, vcc, v26, v20
	v_subb_co_u32_e64 v26, s[0:1], v28, v29, vcc
	v_subrev_co_u32_e64 v28, s[0:1], s56, v20
	v_subbrev_co_u32_e64 v26, s[0:1], 0, v26, s[0:1]
	v_cmp_le_u32_e64 s[0:1], s57, v26
	v_cndmask_b32_e64 v29, 0, -1, s[0:1]
	v_cmp_le_u32_e64 s[0:1], s56, v28
	v_cndmask_b32_e64 v28, 0, -1, s[0:1]
	v_cmp_eq_u32_e64 s[0:1], s57, v26
	v_cndmask_b32_e64 v26, v29, v28, s[0:1]
	v_add_co_u32_e64 v28, s[0:1], 2, v22
	v_subb_co_u32_e32 v21, vcc, v27, v21, vcc
	v_addc_co_u32_e64 v29, s[0:1], 0, v23, s[0:1]
	v_cmp_le_u32_e32 vcc, s57, v21
	v_add_co_u32_e64 v30, s[0:1], 1, v22
	v_cndmask_b32_e64 v27, 0, -1, vcc
	v_cmp_le_u32_e32 vcc, s56, v20
	v_addc_co_u32_e64 v31, s[0:1], 0, v23, s[0:1]
	v_cndmask_b32_e64 v20, 0, -1, vcc
	v_cmp_eq_u32_e32 vcc, s57, v21
	v_cmp_ne_u32_e64 s[0:1], 0, v26
	v_cndmask_b32_e32 v20, v27, v20, vcc
	v_cndmask_b32_e64 v26, v31, v29, s[0:1]
	v_cmp_ne_u32_e32 vcc, 0, v20
	v_cndmask_b32_e64 v21, v30, v28, s[0:1]
	v_cndmask_b32_e32 v20, v23, v26, vcc
	v_cndmask_b32_e32 v21, v22, v21, vcc
	v_xor_b32_e32 v22, v20, v3
	v_xor_b32_e32 v20, v21, v3
	v_sub_co_u32_e32 v20, vcc, v20, v3
	v_subb_co_u32_e32 v21, vcc, v22, v3, vcc
.LBB3_38:                               ;   in Loop: Header=BB3_4 Depth=1
	s_andn2_saveexec_b64 s[0:1], s[2:3]
	s_cbranch_execz .LBB3_40
; %bb.39:                               ;   in Loop: Header=BB3_4 Depth=1
	v_cvt_f32_u32_e32 v3, s40
	s_sub_i32 s2, 0, s40
	v_rcp_iflag_f32_e32 v3, v3
	v_mul_f32_e32 v3, 0x4f7ffffe, v3
	v_cvt_u32_f32_e32 v3, v3
	v_mul_lo_u32 v20, s2, v3
	v_mul_hi_u32 v20, v3, v20
	v_add_u32_e32 v3, v3, v20
	v_mul_hi_u32 v3, v12, v3
	v_mul_lo_u32 v20, v3, s40
	v_add_u32_e32 v21, 1, v3
	v_sub_u32_e32 v20, v12, v20
	v_subrev_u32_e32 v22, s40, v20
	v_cmp_le_u32_e32 vcc, s40, v20
	v_cndmask_b32_e32 v20, v20, v22, vcc
	v_cndmask_b32_e32 v3, v3, v21, vcc
	v_add_u32_e32 v21, 1, v3
	v_cmp_le_u32_e32 vcc, s40, v20
	v_cndmask_b32_e32 v20, v3, v21, vcc
	v_mov_b32_e32 v21, v2
.LBB3_40:                               ;   in Loop: Header=BB3_4 Depth=1
	s_or_b64 exec, exec, s[0:1]
	v_add_co_u32_e32 v20, vcc, 1, v20
	v_addc_co_u32_e32 v21, vcc, 0, v21, vcc
	v_cmp_gt_i64_e32 vcc, s[48:49], v[20:21]
	v_mov_b32_e32 v3, s49
	v_cndmask_b32_e32 v21, v3, v21, vcc
	v_mov_b32_e32 v3, s48
	v_cndmask_b32_e32 v20, v3, v20, vcc
	v_cmp_lt_i64_e32 vcc, v[18:19], v[20:21]
	v_mov_b32_e32 v23, 0
	v_mov_b32_e32 v22, 0
	s_and_saveexec_b64 s[56:57], vcc
	s_cbranch_execz .LBB3_3
; %bb.41:                               ;   in Loop: Header=BB3_4 Depth=1
	v_add_co_u32_e32 v22, vcc, 1, v24
	v_addc_co_u32_e32 v23, vcc, 0, v25, vcc
	v_cmp_gt_i64_e32 vcc, s[50:51], v[22:23]
	v_mov_b32_e32 v3, s51
	v_cndmask_b32_e32 v25, v3, v23, vcc
	v_lshlrev_b64 v[23:24], 3, v[10:11]
	v_mul_lo_u32 v30, s12, v5
	v_mul_lo_u32 v31, s13, v4
	v_mad_u64_u32 v[26:27], s[0:1], s12, v4, v[23:24]
	v_mul_lo_u32 v28, v15, s20
	v_mul_lo_u32 v29, v14, s21
	v_mad_u64_u32 v[14:15], s[0:1], v14, s20, 0
	v_mov_b32_e32 v3, s50
	v_cndmask_b32_e32 v24, v3, v22, vcc
	v_add3_u32 v3, v31, v27, v30
	v_mov_b32_e32 v22, s11
	v_add_co_u32_e32 v26, vcc, s10, v26
	v_add3_u32 v15, v15, v29, v28
	v_addc_co_u32_e32 v27, vcc, v22, v3, vcc
	v_mul_lo_u32 v28, s43, v10
	v_mul_lo_u32 v29, s42, v11
	v_mad_u64_u32 v[22:23], s[2:3], s42, v10, 0
	v_mov_b32_e32 v3, s39
	v_add_co_u32_e32 v30, vcc, s38, v0
	v_addc_co_u32_e32 v3, vcc, v3, v1, vcc
	v_add3_u32 v23, v23, v29, v28
	v_sub_co_u32_e32 v22, vcc, v30, v22
	v_subb_co_u32_e32 v3, vcc, v3, v23, vcc
	v_sub_co_u32_e32 v16, vcc, v22, v16
	v_subb_co_u32_e32 v3, vcc, v3, v17, vcc
	v_cmp_lt_i64_e64 s[0:1], v[10:11], v[24:25]
	v_sub_co_u32_e32 v8, vcc, v16, v8
	v_mov_b32_e32 v23, 0
	v_subb_co_u32_e32 v9, vcc, v3, v9, vcc
	s_mov_b64 s[58:59], 0
	v_mov_b32_e32 v22, v23
	s_branch .LBB3_44
.LBB3_42:                               ;   in Loop: Header=BB3_44 Depth=2
	s_or_b64 exec, exec, s[62:63]
.LBB3_43:                               ;   in Loop: Header=BB3_44 Depth=2
	s_or_b64 exec, exec, s[60:61]
	v_add_co_u32_e32 v18, vcc, 1, v18
	v_addc_co_u32_e32 v19, vcc, 0, v19, vcc
	v_cmp_ge_i64_e32 vcc, v[18:19], v[20:21]
	s_or_b64 s[58:59], vcc, s[58:59]
	s_andn2_b64 exec, exec, s[58:59]
	s_cbranch_execz .LBB3_2
.LBB3_44:                               ;   Parent Loop BB3_4 Depth=1
                                        ; =>  This Loop Header: Depth=2
                                        ;       Child Loop BB3_52 Depth 3
	s_and_saveexec_b64 s[60:61], s[0:1]
	s_cbranch_execz .LBB3_43
; %bb.45:                               ;   in Loop: Header=BB3_44 Depth=2
	v_mul_lo_u32 v3, v19, s40
	v_mul_lo_u32 v28, v18, s41
	v_mad_u64_u32 v[16:17], s[2:3], v18, s40, 0
	v_add3_u32 v3, v17, v28, v3
	v_sub_co_u32_e32 v28, vcc, v12, v16
	v_subb_co_u32_e32 v29, vcc, v13, v3, vcc
	v_or_b32_e32 v3, s45, v29
	v_cmp_ne_u64_e32 vcc, 0, v[2:3]
                                        ; implicit-def: $vgpr16_vgpr17
	s_and_saveexec_b64 s[2:3], vcc
	s_xor_b64 s[4:5], exec, s[2:3]
	s_cbranch_execz .LBB3_47
; %bb.46:                               ;   in Loop: Header=BB3_44 Depth=2
	s_ashr_i32 s62, s45, 31
	s_add_u32 s2, s44, s62
	s_mov_b32 s63, s62
	s_addc_u32 s3, s45, s62
	s_xor_b64 s[64:65], s[2:3], s[62:63]
	v_cvt_f32_u32_e32 v3, s64
	v_cvt_f32_u32_e32 v16, s65
	s_sub_u32 s63, 0, s64
	s_subb_u32 s66, 0, s65
	v_mac_f32_e32 v3, 0x4f800000, v16
	v_rcp_f32_e32 v3, v3
	v_mul_f32_e32 v3, 0x5f7ffffc, v3
	v_mul_f32_e32 v16, 0x2f800000, v3
	v_trunc_f32_e32 v16, v16
	v_mac_f32_e32 v3, 0xcf800000, v16
	v_cvt_u32_f32_e32 v16, v16
	v_cvt_u32_f32_e32 v3, v3
	v_readfirstlane_b32 s67, v16
	v_readfirstlane_b32 s2, v3
	s_mul_i32 s3, s63, s67
	s_mul_hi_u32 s69, s63, s2
	s_mul_i32 s68, s66, s2
	s_add_i32 s3, s69, s3
	s_add_i32 s3, s3, s68
	s_mul_i32 s70, s63, s2
	s_mul_i32 s69, s2, s3
	s_mul_hi_u32 s71, s2, s70
	s_mul_hi_u32 s68, s2, s3
	s_add_u32 s69, s71, s69
	s_addc_u32 s68, 0, s68
	s_mul_hi_u32 s74, s67, s70
	s_mul_i32 s70, s67, s70
	s_add_u32 s69, s69, s70
	s_mul_hi_u32 s71, s67, s3
	s_addc_u32 s68, s68, s74
	s_addc_u32 s69, s71, 0
	s_mul_i32 s3, s67, s3
	s_add_u32 s3, s68, s3
	s_addc_u32 s68, 0, s69
	s_add_u32 s69, s2, s3
	s_cselect_b64 s[2:3], -1, 0
	s_cmp_lg_u64 s[2:3], 0
	s_addc_u32 s67, s67, s68
	s_mul_i32 s2, s63, s67
	s_mul_hi_u32 s3, s63, s69
	s_add_i32 s2, s3, s2
	s_mul_i32 s66, s66, s69
	s_add_i32 s2, s2, s66
	s_mul_i32 s63, s63, s69
	s_mul_hi_u32 s66, s67, s63
	s_mul_i32 s68, s67, s63
	s_mul_i32 s71, s69, s2
	s_mul_hi_u32 s63, s69, s63
	s_mul_hi_u32 s70, s69, s2
	s_add_u32 s63, s63, s71
	s_addc_u32 s70, 0, s70
	s_add_u32 s63, s63, s68
	s_mul_hi_u32 s3, s67, s2
	s_addc_u32 s63, s70, s66
	s_addc_u32 s3, s3, 0
	s_mul_i32 s2, s67, s2
	s_add_u32 s2, s63, s2
	s_addc_u32 s63, 0, s3
	s_add_u32 s66, s69, s2
	s_cselect_b64 s[2:3], -1, 0
	v_ashrrev_i32_e32 v3, 31, v29
	s_cmp_lg_u64 s[2:3], 0
	v_add_co_u32_e32 v16, vcc, v28, v3
	s_addc_u32 s63, s67, s63
	v_xor_b32_e32 v32, v16, v3
	v_mad_u64_u32 v[16:17], s[2:3], v32, s63, 0
	v_mul_hi_u32 v31, v32, s66
	v_addc_co_u32_e32 v30, vcc, v29, v3, vcc
	v_xor_b32_e32 v33, v30, v3
	v_add_co_u32_e32 v34, vcc, v31, v16
	v_addc_co_u32_e32 v35, vcc, 0, v17, vcc
	v_mad_u64_u32 v[16:17], s[2:3], v33, s66, 0
	v_mad_u64_u32 v[30:31], s[2:3], v33, s63, 0
	v_add_co_u32_e32 v16, vcc, v34, v16
	v_addc_co_u32_e32 v16, vcc, v35, v17, vcc
	v_addc_co_u32_e32 v17, vcc, 0, v31, vcc
	v_add_co_u32_e32 v30, vcc, v16, v30
	v_addc_co_u32_e32 v31, vcc, 0, v17, vcc
	v_mul_lo_u32 v34, s65, v30
	v_mul_lo_u32 v35, s64, v31
	v_mad_u64_u32 v[16:17], s[2:3], s64, v30, 0
	v_xor_b32_e32 v3, s62, v3
	v_add3_u32 v17, v17, v35, v34
	v_sub_u32_e32 v34, v33, v17
	v_mov_b32_e32 v35, s65
	v_sub_co_u32_e32 v16, vcc, v32, v16
	v_subb_co_u32_e64 v32, s[2:3], v34, v35, vcc
	v_subrev_co_u32_e64 v34, s[2:3], s64, v16
	v_subbrev_co_u32_e64 v32, s[2:3], 0, v32, s[2:3]
	v_cmp_le_u32_e64 s[2:3], s65, v32
	v_cndmask_b32_e64 v35, 0, -1, s[2:3]
	v_cmp_le_u32_e64 s[2:3], s64, v34
	v_cndmask_b32_e64 v34, 0, -1, s[2:3]
	v_cmp_eq_u32_e64 s[2:3], s65, v32
	v_cndmask_b32_e64 v32, v35, v34, s[2:3]
	v_add_co_u32_e64 v34, s[2:3], 2, v30
	v_subb_co_u32_e32 v17, vcc, v33, v17, vcc
	v_addc_co_u32_e64 v35, s[2:3], 0, v31, s[2:3]
	v_cmp_le_u32_e32 vcc, s65, v17
	v_add_co_u32_e64 v36, s[2:3], 1, v30
	v_cndmask_b32_e64 v33, 0, -1, vcc
	v_cmp_le_u32_e32 vcc, s64, v16
	v_addc_co_u32_e64 v37, s[2:3], 0, v31, s[2:3]
	v_cndmask_b32_e64 v16, 0, -1, vcc
	v_cmp_eq_u32_e32 vcc, s65, v17
	v_cmp_ne_u32_e64 s[2:3], 0, v32
	v_cndmask_b32_e32 v16, v33, v16, vcc
	v_cndmask_b32_e64 v32, v37, v35, s[2:3]
	v_cmp_ne_u32_e32 vcc, 0, v16
	v_cndmask_b32_e64 v17, v36, v34, s[2:3]
	v_cndmask_b32_e32 v16, v31, v32, vcc
	v_cndmask_b32_e32 v17, v30, v17, vcc
	v_xor_b32_e32 v30, v16, v3
	v_xor_b32_e32 v16, v17, v3
	v_sub_co_u32_e32 v16, vcc, v16, v3
	v_subb_co_u32_e32 v17, vcc, v30, v3, vcc
.LBB3_47:                               ;   in Loop: Header=BB3_44 Depth=2
	s_andn2_saveexec_b64 s[2:3], s[4:5]
	s_cbranch_execz .LBB3_49
; %bb.48:                               ;   in Loop: Header=BB3_44 Depth=2
	v_cvt_f32_u32_e32 v3, s44
	s_sub_i32 s4, 0, s44
	v_rcp_iflag_f32_e32 v3, v3
	v_mul_f32_e32 v3, 0x4f7ffffe, v3
	v_cvt_u32_f32_e32 v3, v3
	v_mul_lo_u32 v16, s4, v3
	v_mul_hi_u32 v16, v3, v16
	v_add_u32_e32 v3, v3, v16
	v_mul_hi_u32 v3, v28, v3
	v_mul_lo_u32 v16, v3, s44
	v_add_u32_e32 v17, 1, v3
	v_sub_u32_e32 v16, v28, v16
	v_subrev_u32_e32 v30, s44, v16
	v_cmp_le_u32_e32 vcc, s44, v16
	v_cndmask_b32_e32 v16, v16, v30, vcc
	v_cndmask_b32_e32 v3, v3, v17, vcc
	v_add_u32_e32 v17, 1, v3
	v_cmp_le_u32_e32 vcc, s44, v16
	v_cndmask_b32_e32 v16, v3, v17, vcc
	v_mov_b32_e32 v17, v2
.LBB3_49:                               ;   in Loop: Header=BB3_44 Depth=2
	s_or_b64 exec, exec, s[2:3]
	v_mul_lo_u32 v3, v17, s44
	v_mul_lo_u32 v32, v16, s45
	v_mad_u64_u32 v[30:31], s[2:3], v16, s44, 0
	v_add_co_u32_e32 v16, vcc, v16, v14
	v_addc_co_u32_e32 v17, vcc, v17, v15, vcc
	v_add3_u32 v3, v31, v32, v3
	v_mul_lo_u32 v31, v17, s22
	v_mul_lo_u32 v32, v16, s23
	v_mad_u64_u32 v[16:17], s[2:3], v16, s22, 0
	v_sub_co_u32_e32 v28, vcc, v28, v30
	v_subb_co_u32_e32 v29, vcc, v29, v3, vcc
	v_cmp_eq_u64_e64 s[2:3], 0, v[28:29]
	v_add3_u32 v17, v17, v32, v31
	v_mov_b32_e32 v29, v9
	v_mov_b32_e32 v31, v27
	;; [unrolled: 1-line block ×3, first 2 shown]
	s_mov_b64 s[62:63], 0
	v_mov_b32_e32 v28, v8
	v_mov_b32_e32 v30, v26
	;; [unrolled: 1-line block ×3, first 2 shown]
	s_branch .LBB3_52
.LBB3_50:                               ;   in Loop: Header=BB3_52 Depth=3
	s_or_b64 exec, exec, s[4:5]
.LBB3_51:                               ;   in Loop: Header=BB3_52 Depth=3
	s_or_b64 exec, exec, s[64:65]
	v_add_co_u32_e32 v32, vcc, 1, v32
	v_addc_co_u32_e32 v33, vcc, 0, v33, vcc
	v_add_co_u32_e32 v30, vcc, 8, v30
	v_addc_co_u32_e32 v31, vcc, 0, v31, vcc
	v_cmp_ge_i64_e32 vcc, v[32:33], v[24:25]
	v_mov_b32_e32 v3, s43
	s_or_b64 s[62:63], vcc, s[62:63]
	v_subrev_co_u32_e32 v28, vcc, s42, v28
	v_subb_co_u32_e32 v29, vcc, v29, v3, vcc
	s_andn2_b64 exec, exec, s[62:63]
	s_cbranch_execz .LBB3_42
.LBB3_52:                               ;   Parent Loop BB3_4 Depth=1
                                        ;     Parent Loop BB3_44 Depth=2
                                        ; =>    This Inner Loop Header: Depth=3
	s_and_saveexec_b64 s[64:65], s[2:3]
	s_cbranch_execz .LBB3_51
; %bb.53:                               ;   in Loop: Header=BB3_52 Depth=3
	v_or_b32_e32 v3, s47, v29
	v_cmp_ne_u64_e32 vcc, 0, v[2:3]
                                        ; implicit-def: $vgpr34_vgpr35
	s_and_saveexec_b64 s[4:5], vcc
	s_xor_b64 s[66:67], exec, s[4:5]
	s_cbranch_execz .LBB3_55
; %bb.54:                               ;   in Loop: Header=BB3_52 Depth=3
	s_ashr_i32 s68, s47, 31
	s_add_u32 s4, s46, s68
	s_mov_b32 s69, s68
	s_addc_u32 s5, s47, s68
	s_xor_b64 s[70:71], s[4:5], s[68:69]
	v_cvt_f32_u32_e32 v3, s70
	v_cvt_f32_u32_e32 v34, s71
	s_sub_u32 s69, 0, s70
	s_subb_u32 s74, 0, s71
	v_mac_f32_e32 v3, 0x4f800000, v34
	v_rcp_f32_e32 v3, v3
	v_mul_f32_e32 v3, 0x5f7ffffc, v3
	v_mul_f32_e32 v34, 0x2f800000, v3
	v_trunc_f32_e32 v34, v34
	v_mac_f32_e32 v3, 0xcf800000, v34
	v_cvt_u32_f32_e32 v34, v34
	v_cvt_u32_f32_e32 v3, v3
	v_readfirstlane_b32 s75, v34
	v_readfirstlane_b32 s4, v3
	s_mul_i32 s5, s69, s75
	s_mul_hi_u32 s77, s69, s4
	s_mul_i32 s76, s74, s4
	s_add_i32 s5, s77, s5
	s_add_i32 s5, s5, s76
	s_mul_i32 s78, s69, s4
	s_mul_i32 s77, s4, s5
	s_mul_hi_u32 s79, s4, s78
	s_mul_hi_u32 s76, s4, s5
	s_add_u32 s77, s79, s77
	s_addc_u32 s76, 0, s76
	s_mul_hi_u32 s80, s75, s78
	s_mul_i32 s78, s75, s78
	s_add_u32 s77, s77, s78
	s_mul_hi_u32 s79, s75, s5
	s_addc_u32 s76, s76, s80
	s_addc_u32 s77, s79, 0
	s_mul_i32 s5, s75, s5
	s_add_u32 s5, s76, s5
	s_addc_u32 s76, 0, s77
	s_add_u32 s77, s4, s5
	s_cselect_b64 s[4:5], -1, 0
	s_cmp_lg_u64 s[4:5], 0
	s_addc_u32 s75, s75, s76
	s_mul_i32 s4, s69, s75
	s_mul_hi_u32 s5, s69, s77
	s_add_i32 s4, s5, s4
	s_mul_i32 s74, s74, s77
	s_add_i32 s4, s4, s74
	s_mul_i32 s69, s69, s77
	s_mul_hi_u32 s74, s75, s69
	s_mul_i32 s76, s75, s69
	s_mul_i32 s79, s77, s4
	s_mul_hi_u32 s69, s77, s69
	s_mul_hi_u32 s78, s77, s4
	s_add_u32 s69, s69, s79
	s_addc_u32 s78, 0, s78
	s_add_u32 s69, s69, s76
	s_mul_hi_u32 s5, s75, s4
	s_addc_u32 s69, s78, s74
	s_addc_u32 s5, s5, 0
	s_mul_i32 s4, s75, s4
	s_add_u32 s4, s69, s4
	s_addc_u32 s69, 0, s5
	s_add_u32 s74, s77, s4
	s_cselect_b64 s[4:5], -1, 0
	v_ashrrev_i32_e32 v3, 31, v29
	s_cmp_lg_u64 s[4:5], 0
	v_add_co_u32_e32 v34, vcc, v28, v3
	s_addc_u32 s69, s75, s69
	v_xor_b32_e32 v38, v34, v3
	v_mad_u64_u32 v[34:35], s[4:5], v38, s69, 0
	v_mul_hi_u32 v37, v38, s74
	v_addc_co_u32_e32 v36, vcc, v29, v3, vcc
	v_xor_b32_e32 v39, v36, v3
	v_add_co_u32_e32 v40, vcc, v37, v34
	v_addc_co_u32_e32 v41, vcc, 0, v35, vcc
	v_mad_u64_u32 v[34:35], s[4:5], v39, s74, 0
	v_mad_u64_u32 v[36:37], s[4:5], v39, s69, 0
	v_add_co_u32_e32 v34, vcc, v40, v34
	v_addc_co_u32_e32 v34, vcc, v41, v35, vcc
	v_addc_co_u32_e32 v35, vcc, 0, v37, vcc
	v_add_co_u32_e32 v36, vcc, v34, v36
	v_addc_co_u32_e32 v37, vcc, 0, v35, vcc
	v_mul_lo_u32 v40, s71, v36
	v_mul_lo_u32 v41, s70, v37
	v_mad_u64_u32 v[34:35], s[4:5], s70, v36, 0
	v_xor_b32_e32 v3, s68, v3
	v_add3_u32 v35, v35, v41, v40
	v_sub_u32_e32 v40, v39, v35
	v_mov_b32_e32 v41, s71
	v_sub_co_u32_e32 v34, vcc, v38, v34
	v_subb_co_u32_e64 v38, s[4:5], v40, v41, vcc
	v_subrev_co_u32_e64 v40, s[4:5], s70, v34
	v_subbrev_co_u32_e64 v38, s[4:5], 0, v38, s[4:5]
	v_cmp_le_u32_e64 s[4:5], s71, v38
	v_cndmask_b32_e64 v41, 0, -1, s[4:5]
	v_cmp_le_u32_e64 s[4:5], s70, v40
	v_cndmask_b32_e64 v40, 0, -1, s[4:5]
	v_cmp_eq_u32_e64 s[4:5], s71, v38
	v_cndmask_b32_e64 v38, v41, v40, s[4:5]
	v_add_co_u32_e64 v40, s[4:5], 2, v36
	v_subb_co_u32_e32 v35, vcc, v39, v35, vcc
	v_addc_co_u32_e64 v41, s[4:5], 0, v37, s[4:5]
	v_cmp_le_u32_e32 vcc, s71, v35
	v_add_co_u32_e64 v42, s[4:5], 1, v36
	v_cndmask_b32_e64 v39, 0, -1, vcc
	v_cmp_le_u32_e32 vcc, s70, v34
	v_addc_co_u32_e64 v43, s[4:5], 0, v37, s[4:5]
	v_cndmask_b32_e64 v34, 0, -1, vcc
	v_cmp_eq_u32_e32 vcc, s71, v35
	v_cmp_ne_u32_e64 s[4:5], 0, v38
	v_cndmask_b32_e32 v34, v39, v34, vcc
	v_cndmask_b32_e64 v38, v43, v41, s[4:5]
	v_cmp_ne_u32_e32 vcc, 0, v34
	v_cndmask_b32_e64 v35, v42, v40, s[4:5]
	v_cndmask_b32_e32 v34, v37, v38, vcc
	v_cndmask_b32_e32 v35, v36, v35, vcc
	v_xor_b32_e32 v36, v34, v3
	v_xor_b32_e32 v34, v35, v3
	v_sub_co_u32_e32 v34, vcc, v34, v3
	v_subb_co_u32_e32 v35, vcc, v36, v3, vcc
.LBB3_55:                               ;   in Loop: Header=BB3_52 Depth=3
	s_andn2_saveexec_b64 s[4:5], s[66:67]
	s_cbranch_execz .LBB3_57
; %bb.56:                               ;   in Loop: Header=BB3_52 Depth=3
	v_cvt_f32_u32_e32 v3, s46
	s_sub_i32 s66, 0, s46
	v_rcp_iflag_f32_e32 v3, v3
	v_mul_f32_e32 v3, 0x4f7ffffe, v3
	v_cvt_u32_f32_e32 v3, v3
	v_mul_lo_u32 v34, s66, v3
	v_mul_hi_u32 v34, v3, v34
	v_add_u32_e32 v3, v3, v34
	v_mul_hi_u32 v3, v28, v3
	v_mul_lo_u32 v34, v3, s46
	v_add_u32_e32 v35, 1, v3
	v_sub_u32_e32 v34, v28, v34
	v_subrev_u32_e32 v36, s46, v34
	v_cmp_le_u32_e32 vcc, s46, v34
	v_cndmask_b32_e32 v34, v34, v36, vcc
	v_cndmask_b32_e32 v3, v3, v35, vcc
	v_add_u32_e32 v35, 1, v3
	v_cmp_le_u32_e32 vcc, s46, v34
	v_cndmask_b32_e32 v34, v3, v35, vcc
	v_mov_b32_e32 v35, v2
.LBB3_57:                               ;   in Loop: Header=BB3_52 Depth=3
	s_or_b64 exec, exec, s[4:5]
	v_mul_lo_u32 v3, v35, s46
	v_mul_lo_u32 v38, v34, s47
	v_mad_u64_u32 v[36:37], s[4:5], v34, s46, 0
	v_add3_u32 v3, v37, v38, v3
	v_sub_co_u32_e32 v36, vcc, v28, v36
	v_subb_co_u32_e32 v37, vcc, v29, v3, vcc
	v_cmp_eq_u64_e32 vcc, 0, v[36:37]
	s_and_saveexec_b64 s[4:5], vcc
	s_cbranch_execz .LBB3_50
; %bb.58:                               ;   in Loop: Header=BB3_52 Depth=3
	v_add_co_u32_e32 v3, vcc, v16, v34
	v_addc_co_u32_e32 v34, vcc, v17, v35, vcc
	v_mul_lo_u32 v36, v3, s49
	v_mul_lo_u32 v37, v34, s48
	v_mad_u64_u32 v[34:35], s[66:67], v3, s48, v[18:19]
	v_add3_u32 v3, v37, v35, v36
	v_mul_lo_u32 v3, s52, v3
	v_mul_lo_u32 v36, s53, v34
	v_mad_u64_u32 v[34:35], s[66:67], s52, v34, v[30:31]
	v_add3_u32 v35, v36, v35, v3
	global_load_dwordx2 v[34:35], v[34:35], off
	s_waitcnt vmcnt(0)
	v_add_f32_e32 v22, v22, v34
	v_add_f32_e32 v23, v23, v35
	s_branch .LBB3_50
.LBB3_59:
	s_endpgm
	.section	.rodata,"a",@progbits
	.p2align	6, 0x0
	.amdhsa_kernel _ZN2at6native21col2im_batched_kernelIN3c107complexIfEEEEvlPKT_llllllllllllllPS5_l
		.amdhsa_group_segment_fixed_size 0
		.amdhsa_private_segment_fixed_size 0
		.amdhsa_kernarg_size 400
		.amdhsa_user_sgpr_count 6
		.amdhsa_user_sgpr_private_segment_buffer 1
		.amdhsa_user_sgpr_dispatch_ptr 0
		.amdhsa_user_sgpr_queue_ptr 0
		.amdhsa_user_sgpr_kernarg_segment_ptr 1
		.amdhsa_user_sgpr_dispatch_id 0
		.amdhsa_user_sgpr_flat_scratch_init 0
		.amdhsa_user_sgpr_private_segment_size 0
		.amdhsa_uses_dynamic_stack 0
		.amdhsa_system_sgpr_private_segment_wavefront_offset 0
		.amdhsa_system_sgpr_workgroup_id_x 1
		.amdhsa_system_sgpr_workgroup_id_y 0
		.amdhsa_system_sgpr_workgroup_id_z 0
		.amdhsa_system_sgpr_workgroup_info 0
		.amdhsa_system_vgpr_workitem_id 0
		.amdhsa_next_free_vgpr 44
		.amdhsa_next_free_sgpr 81
		.amdhsa_reserve_vcc 1
		.amdhsa_reserve_flat_scratch 0
		.amdhsa_float_round_mode_32 0
		.amdhsa_float_round_mode_16_64 0
		.amdhsa_float_denorm_mode_32 3
		.amdhsa_float_denorm_mode_16_64 3
		.amdhsa_dx10_clamp 1
		.amdhsa_ieee_mode 1
		.amdhsa_fp16_overflow 0
		.amdhsa_exception_fp_ieee_invalid_op 0
		.amdhsa_exception_fp_denorm_src 0
		.amdhsa_exception_fp_ieee_div_zero 0
		.amdhsa_exception_fp_ieee_overflow 0
		.amdhsa_exception_fp_ieee_underflow 0
		.amdhsa_exception_fp_ieee_inexact 0
		.amdhsa_exception_int_div_zero 0
	.end_amdhsa_kernel
	.section	.text._ZN2at6native21col2im_batched_kernelIN3c107complexIfEEEEvlPKT_llllllllllllllPS5_l,"axG",@progbits,_ZN2at6native21col2im_batched_kernelIN3c107complexIfEEEEvlPKT_llllllllllllllPS5_l,comdat
.Lfunc_end3:
	.size	_ZN2at6native21col2im_batched_kernelIN3c107complexIfEEEEvlPKT_llllllllllllllPS5_l, .Lfunc_end3-_ZN2at6native21col2im_batched_kernelIN3c107complexIfEEEEvlPKT_llllllllllllllPS5_l
                                        ; -- End function
	.set _ZN2at6native21col2im_batched_kernelIN3c107complexIfEEEEvlPKT_llllllllllllllPS5_l.num_vgpr, 44
	.set _ZN2at6native21col2im_batched_kernelIN3c107complexIfEEEEvlPKT_llllllllllllllPS5_l.num_agpr, 0
	.set _ZN2at6native21col2im_batched_kernelIN3c107complexIfEEEEvlPKT_llllllllllllllPS5_l.numbered_sgpr, 81
	.set _ZN2at6native21col2im_batched_kernelIN3c107complexIfEEEEvlPKT_llllllllllllllPS5_l.num_named_barrier, 0
	.set _ZN2at6native21col2im_batched_kernelIN3c107complexIfEEEEvlPKT_llllllllllllllPS5_l.private_seg_size, 0
	.set _ZN2at6native21col2im_batched_kernelIN3c107complexIfEEEEvlPKT_llllllllllllllPS5_l.uses_vcc, 1
	.set _ZN2at6native21col2im_batched_kernelIN3c107complexIfEEEEvlPKT_llllllllllllllPS5_l.uses_flat_scratch, 0
	.set _ZN2at6native21col2im_batched_kernelIN3c107complexIfEEEEvlPKT_llllllllllllllPS5_l.has_dyn_sized_stack, 0
	.set _ZN2at6native21col2im_batched_kernelIN3c107complexIfEEEEvlPKT_llllllllllllllPS5_l.has_recursion, 0
	.set _ZN2at6native21col2im_batched_kernelIN3c107complexIfEEEEvlPKT_llllllllllllllPS5_l.has_indirect_call, 0
	.section	.AMDGPU.csdata,"",@progbits
; Kernel info:
; codeLenInByte = 8548
; TotalNumSgprs: 85
; NumVgprs: 44
; ScratchSize: 0
; MemoryBound: 0
; FloatMode: 240
; IeeeMode: 1
; LDSByteSize: 0 bytes/workgroup (compile time only)
; SGPRBlocks: 10
; VGPRBlocks: 10
; NumSGPRsForWavesPerEU: 85
; NumVGPRsForWavesPerEU: 44
; Occupancy: 5
; WaveLimiterHint : 0
; COMPUTE_PGM_RSRC2:SCRATCH_EN: 0
; COMPUTE_PGM_RSRC2:USER_SGPR: 6
; COMPUTE_PGM_RSRC2:TRAP_HANDLER: 0
; COMPUTE_PGM_RSRC2:TGID_X_EN: 1
; COMPUTE_PGM_RSRC2:TGID_Y_EN: 0
; COMPUTE_PGM_RSRC2:TGID_Z_EN: 0
; COMPUTE_PGM_RSRC2:TIDIG_COMP_CNT: 0
	.section	.text._ZN2at6native21col2im_batched_kernelIN3c104HalfEEEvlPKT_llllllllllllllPS4_l,"axG",@progbits,_ZN2at6native21col2im_batched_kernelIN3c104HalfEEEvlPKT_llllllllllllllPS4_l,comdat
	.protected	_ZN2at6native21col2im_batched_kernelIN3c104HalfEEEvlPKT_llllllllllllllPS4_l ; -- Begin function _ZN2at6native21col2im_batched_kernelIN3c104HalfEEEvlPKT_llllllllllllllPS4_l
	.globl	_ZN2at6native21col2im_batched_kernelIN3c104HalfEEEvlPKT_llllllllllllllPS4_l
	.p2align	8
	.type	_ZN2at6native21col2im_batched_kernelIN3c104HalfEEEvlPKT_llllllllllllllPS4_l,@function
_ZN2at6native21col2im_batched_kernelIN3c104HalfEEEvlPKT_llllllllllllllPS4_l: ; @_ZN2at6native21col2im_batched_kernelIN3c104HalfEEEvlPKT_llllllllllllllPS4_l
; %bb.0:
	s_load_dwordx16 s[8:23], s[4:5], 0x0
	s_load_dword s2, s[4:5], 0x9c
	v_mov_b32_e32 v2, 0
	v_mov_b32_e32 v1, v2
	;; [unrolled: 1-line block ×3, first 2 shown]
	s_waitcnt lgkmcnt(0)
	s_mul_i32 s0, s14, s9
	s_mul_hi_u32 s1, s14, s8
	s_add_i32 s0, s1, s0
	s_mul_i32 s1, s15, s8
	s_add_i32 s7, s0, s1
	s_add_u32 s0, s4, 0x90
	s_addc_u32 s1, s5, 0
	s_and_b32 s2, s2, 0xffff
	v_mad_u64_u32 v[0:1], s[24:25], s2, v3, v[0:1]
	s_mul_i32 s6, s14, s8
	v_cmp_gt_i64_e32 vcc, s[6:7], v[0:1]
	s_and_saveexec_b64 s[14:15], vcc
	s_cbranch_execz .LBB4_59
; %bb.1:
	s_load_dwordx16 s[36:51], s[4:5], 0x40
	s_load_dwordx4 s[24:27], s[4:5], 0x80
	s_load_dword s3, s[0:1], 0x0
	s_mul_i32 s0, s18, s17
	s_mul_hi_u32 s1, s18, s16
	s_add_i32 s0, s1, s0
	s_mul_i32 s1, s19, s16
	s_add_i32 s33, s0, s1
	s_add_u32 s0, s22, -1
	s_addc_u32 s1, s23, -1
	s_waitcnt lgkmcnt(0)
	s_mul_i32 s1, s46, s1
	s_mul_hi_u32 s4, s46, s0
	s_add_i32 s1, s4, s1
	s_mul_i32 s4, s47, s0
	s_add_i32 s15, s1, s4
	s_mul_i32 s14, s46, s0
	s_add_u32 s0, s20, -1
	s_addc_u32 s1, s21, -1
	s_mul_i32 s1, s44, s1
	s_mul_hi_u32 s4, s44, s0
	s_add_i32 s1, s4, s1
	s_mul_i32 s4, s45, s0
	s_add_i32 s29, s1, s4
	s_mul_i32 s28, s44, s0
	s_mul_i32 s72, s18, s16
	s_not_b64 s[30:31], s[28:29]
	s_not_b64 s[34:35], s[14:15]
	s_mul_i32 s73, s3, s2
	s_lshl_b64 s[52:53], s[50:51], 1
	s_lshl_b64 s[12:13], s[12:13], 1
	s_mov_b64 s[54:55], 0
	s_branch .LBB4_4
.LBB4_2:                                ;   in Loop: Header=BB4_4 Depth=1
	s_or_b64 exec, exec, s[58:59]
	v_cvt_f16_f32_e32 v3, v34
.LBB4_3:                                ;   in Loop: Header=BB4_4 Depth=1
	s_or_b64 exec, exec, s[56:57]
	v_mul_lo_u32 v8, v5, s26
	v_mul_lo_u32 v9, v4, s27
	v_mad_u64_u32 v[4:5], s[0:1], v4, s26, 0
	v_add3_u32 v5, v5, v9, v8
	v_lshlrev_b64 v[4:5], 1, v[4:5]
	v_mov_b32_e32 v8, s25
	v_add_co_u32_e32 v9, vcc, s24, v4
	v_addc_co_u32_e32 v8, vcc, v8, v5, vcc
	v_add_co_u32_e32 v0, vcc, s73, v0
	v_lshlrev_b64 v[4:5], 1, v[6:7]
	v_addc_co_u32_e32 v1, vcc, 0, v1, vcc
	v_cmp_le_i64_e32 vcc, s[6:7], v[0:1]
	v_add_co_u32_e64 v4, s[0:1], v9, v4
	v_addc_co_u32_e64 v5, s[0:1], v8, v5, s[0:1]
	s_or_b64 s[54:55], vcc, s[54:55]
	global_store_short v[4:5], v3, off
	s_andn2_b64 exec, exec, s[54:55]
	s_cbranch_execz .LBB4_59
.LBB4_4:                                ; =>This Loop Header: Depth=1
                                        ;     Child Loop BB4_44 Depth 2
                                        ;       Child Loop BB4_52 Depth 3
	v_or_b32_e32 v3, s9, v1
	v_cmp_ne_u64_e32 vcc, 0, v[2:3]
                                        ; implicit-def: $vgpr4_vgpr5
	s_and_saveexec_b64 s[0:1], vcc
	s_xor_b64 s[2:3], exec, s[0:1]
	s_cbranch_execz .LBB4_6
; %bb.5:                                ;   in Loop: Header=BB4_4 Depth=1
	s_ashr_i32 s4, s9, 31
	s_add_u32 s0, s8, s4
	s_mov_b32 s5, s4
	s_addc_u32 s1, s9, s4
	s_xor_b64 s[56:57], s[0:1], s[4:5]
	v_cvt_f32_u32_e32 v3, s56
	v_cvt_f32_u32_e32 v4, s57
	s_sub_u32 s5, 0, s56
	s_subb_u32 s58, 0, s57
	v_ashrrev_i32_e32 v7, 31, v1
	v_mac_f32_e32 v3, 0x4f800000, v4
	v_rcp_f32_e32 v3, v3
	v_mul_f32_e32 v3, 0x5f7ffffc, v3
	v_mul_f32_e32 v4, 0x2f800000, v3
	v_trunc_f32_e32 v4, v4
	v_mac_f32_e32 v3, 0xcf800000, v4
	v_cvt_u32_f32_e32 v4, v4
	v_cvt_u32_f32_e32 v3, v3
	v_readfirstlane_b32 s59, v4
	v_readfirstlane_b32 s0, v3
	s_mul_i32 s1, s5, s59
	s_mul_hi_u32 s61, s5, s0
	s_mul_i32 s60, s58, s0
	s_add_i32 s1, s61, s1
	s_add_i32 s1, s1, s60
	s_mul_i32 s62, s5, s0
	s_mul_i32 s61, s0, s1
	s_mul_hi_u32 s63, s0, s62
	s_mul_hi_u32 s60, s0, s1
	s_add_u32 s61, s63, s61
	s_addc_u32 s60, 0, s60
	s_mul_hi_u32 s64, s59, s62
	s_mul_i32 s62, s59, s62
	s_add_u32 s61, s61, s62
	s_mul_hi_u32 s63, s59, s1
	s_addc_u32 s60, s60, s64
	s_addc_u32 s61, s63, 0
	s_mul_i32 s1, s59, s1
	s_add_u32 s1, s60, s1
	s_addc_u32 s60, 0, s61
	s_add_u32 s61, s0, s1
	s_cselect_b64 s[0:1], -1, 0
	s_cmp_lg_u64 s[0:1], 0
	s_addc_u32 s59, s59, s60
	s_mul_i32 s0, s5, s59
	s_mul_hi_u32 s1, s5, s61
	s_add_i32 s0, s1, s0
	s_mul_i32 s58, s58, s61
	s_add_i32 s0, s0, s58
	s_mul_i32 s5, s5, s61
	s_mul_hi_u32 s58, s59, s5
	s_mul_i32 s60, s59, s5
	s_mul_i32 s63, s61, s0
	s_mul_hi_u32 s5, s61, s5
	s_mul_hi_u32 s62, s61, s0
	s_add_u32 s5, s5, s63
	s_addc_u32 s62, 0, s62
	s_add_u32 s5, s5, s60
	s_mul_hi_u32 s1, s59, s0
	s_addc_u32 s5, s62, s58
	s_addc_u32 s1, s1, 0
	s_mul_i32 s0, s59, s0
	s_add_u32 s0, s5, s0
	s_addc_u32 s5, 0, s1
	s_add_u32 s58, s61, s0
	s_cselect_b64 s[0:1], -1, 0
	s_cmp_lg_u64 s[0:1], 0
	v_add_co_u32_e32 v3, vcc, v0, v7
	s_addc_u32 s5, s59, s5
	v_xor_b32_e32 v8, v3, v7
	v_mad_u64_u32 v[3:4], s[0:1], v8, s5, 0
	v_mul_hi_u32 v6, v8, s58
	v_addc_co_u32_e32 v5, vcc, v1, v7, vcc
	v_xor_b32_e32 v9, v5, v7
	v_add_co_u32_e32 v10, vcc, v6, v3
	v_addc_co_u32_e32 v11, vcc, 0, v4, vcc
	v_mad_u64_u32 v[3:4], s[0:1], v9, s58, 0
	v_mad_u64_u32 v[5:6], s[0:1], v9, s5, 0
	v_add_co_u32_e32 v3, vcc, v10, v3
	v_addc_co_u32_e32 v3, vcc, v11, v4, vcc
	v_addc_co_u32_e32 v4, vcc, 0, v6, vcc
	v_add_co_u32_e32 v5, vcc, v3, v5
	v_addc_co_u32_e32 v6, vcc, 0, v4, vcc
	v_mul_lo_u32 v10, s57, v5
	v_mul_lo_u32 v11, s56, v6
	v_mad_u64_u32 v[3:4], s[0:1], s56, v5, 0
	v_add3_u32 v4, v4, v11, v10
	v_sub_u32_e32 v10, v9, v4
	v_mov_b32_e32 v11, s57
	v_sub_co_u32_e32 v3, vcc, v8, v3
	v_subb_co_u32_e64 v8, s[0:1], v10, v11, vcc
	v_subrev_co_u32_e64 v10, s[0:1], s56, v3
	v_subbrev_co_u32_e64 v8, s[0:1], 0, v8, s[0:1]
	v_cmp_le_u32_e64 s[0:1], s57, v8
	v_cndmask_b32_e64 v11, 0, -1, s[0:1]
	v_cmp_le_u32_e64 s[0:1], s56, v10
	v_cndmask_b32_e64 v10, 0, -1, s[0:1]
	v_cmp_eq_u32_e64 s[0:1], s57, v8
	v_cndmask_b32_e64 v8, v11, v10, s[0:1]
	v_add_co_u32_e64 v10, s[0:1], 2, v5
	v_subb_co_u32_e32 v4, vcc, v9, v4, vcc
	v_addc_co_u32_e64 v11, s[0:1], 0, v6, s[0:1]
	v_cmp_le_u32_e32 vcc, s57, v4
	v_add_co_u32_e64 v12, s[0:1], 1, v5
	v_cndmask_b32_e64 v9, 0, -1, vcc
	v_cmp_le_u32_e32 vcc, s56, v3
	v_addc_co_u32_e64 v13, s[0:1], 0, v6, s[0:1]
	v_cndmask_b32_e64 v3, 0, -1, vcc
	v_cmp_eq_u32_e32 vcc, s57, v4
	v_cmp_ne_u32_e64 s[0:1], 0, v8
	v_cndmask_b32_e32 v3, v9, v3, vcc
	v_cmp_ne_u32_e32 vcc, 0, v3
	v_cndmask_b32_e64 v4, v12, v10, s[0:1]
	v_cndmask_b32_e64 v8, v13, v11, s[0:1]
	v_cndmask_b32_e32 v4, v5, v4, vcc
	v_xor_b32_e32 v5, s4, v7
	v_cndmask_b32_e32 v3, v6, v8, vcc
	v_xor_b32_e32 v4, v4, v5
	v_xor_b32_e32 v3, v3, v5
	v_sub_co_u32_e32 v4, vcc, v4, v5
	v_subb_co_u32_e32 v5, vcc, v3, v5, vcc
.LBB4_6:                                ;   in Loop: Header=BB4_4 Depth=1
	s_andn2_saveexec_b64 s[0:1], s[2:3]
	s_cbranch_execz .LBB4_8
; %bb.7:                                ;   in Loop: Header=BB4_4 Depth=1
	v_cvt_f32_u32_e32 v3, s8
	s_sub_i32 s2, 0, s8
	v_rcp_iflag_f32_e32 v3, v3
	v_mul_f32_e32 v3, 0x4f7ffffe, v3
	v_cvt_u32_f32_e32 v3, v3
	v_mul_lo_u32 v4, s2, v3
	v_mul_hi_u32 v4, v3, v4
	v_add_u32_e32 v3, v3, v4
	v_mul_hi_u32 v3, v0, v3
	v_mul_lo_u32 v4, v3, s8
	v_add_u32_e32 v5, 1, v3
	v_sub_u32_e32 v4, v0, v4
	v_subrev_u32_e32 v6, s8, v4
	v_cmp_le_u32_e32 vcc, s8, v4
	v_cndmask_b32_e32 v4, v4, v6, vcc
	v_cndmask_b32_e32 v3, v3, v5, vcc
	v_add_u32_e32 v5, 1, v3
	v_cmp_le_u32_e32 vcc, s8, v4
	v_cndmask_b32_e32 v4, v3, v5, vcc
	v_mov_b32_e32 v5, v2
.LBB4_8:                                ;   in Loop: Header=BB4_4 Depth=1
	s_or_b64 exec, exec, s[0:1]
	v_mul_lo_u32 v3, v5, s8
	v_mul_lo_u32 v6, v4, s9
	v_mad_u64_u32 v[8:9], s[0:1], v4, s8, 0
                                        ; implicit-def: $vgpr10_vgpr11
	v_add3_u32 v9, v9, v6, v3
	v_sub_co_u32_e32 v6, vcc, v0, v8
	v_subb_co_u32_e32 v7, vcc, v1, v9, vcc
	v_or_b32_e32 v3, s19, v7
	v_cmp_ne_u64_e32 vcc, 0, v[2:3]
	v_ashrrev_i32_e32 v16, 31, v7
	s_and_saveexec_b64 s[0:1], vcc
	s_xor_b64 s[2:3], exec, s[0:1]
	s_cbranch_execz .LBB4_10
; %bb.9:                                ;   in Loop: Header=BB4_4 Depth=1
	s_ashr_i32 s4, s19, 31
	s_add_u32 s0, s18, s4
	s_mov_b32 s5, s4
	s_addc_u32 s1, s19, s4
	s_xor_b64 s[56:57], s[0:1], s[4:5]
	v_cvt_f32_u32_e32 v3, s56
	v_cvt_f32_u32_e32 v10, s57
	s_sub_u32 s5, 0, s56
	s_subb_u32 s58, 0, s57
	v_mac_f32_e32 v3, 0x4f800000, v10
	v_rcp_f32_e32 v3, v3
	v_mul_f32_e32 v3, 0x5f7ffffc, v3
	v_mul_f32_e32 v10, 0x2f800000, v3
	v_trunc_f32_e32 v10, v10
	v_mac_f32_e32 v3, 0xcf800000, v10
	v_cvt_u32_f32_e32 v10, v10
	v_cvt_u32_f32_e32 v3, v3
	v_readfirstlane_b32 s59, v10
	v_readfirstlane_b32 s0, v3
	s_mul_i32 s1, s5, s59
	s_mul_hi_u32 s61, s5, s0
	s_mul_i32 s60, s58, s0
	s_add_i32 s1, s61, s1
	s_add_i32 s1, s1, s60
	s_mul_i32 s62, s5, s0
	s_mul_i32 s61, s0, s1
	s_mul_hi_u32 s63, s0, s62
	s_mul_hi_u32 s60, s0, s1
	s_add_u32 s61, s63, s61
	s_addc_u32 s60, 0, s60
	s_mul_hi_u32 s64, s59, s62
	s_mul_i32 s62, s59, s62
	s_add_u32 s61, s61, s62
	s_mul_hi_u32 s63, s59, s1
	s_addc_u32 s60, s60, s64
	s_addc_u32 s61, s63, 0
	s_mul_i32 s1, s59, s1
	s_add_u32 s1, s60, s1
	s_addc_u32 s60, 0, s61
	s_add_u32 s61, s0, s1
	s_cselect_b64 s[0:1], -1, 0
	s_cmp_lg_u64 s[0:1], 0
	s_addc_u32 s59, s59, s60
	s_mul_i32 s0, s5, s59
	s_mul_hi_u32 s1, s5, s61
	s_add_i32 s0, s1, s0
	s_mul_i32 s58, s58, s61
	s_add_i32 s0, s0, s58
	s_mul_i32 s5, s5, s61
	s_mul_hi_u32 s58, s59, s5
	s_mul_i32 s60, s59, s5
	s_mul_i32 s63, s61, s0
	s_mul_hi_u32 s5, s61, s5
	s_mul_hi_u32 s62, s61, s0
	s_add_u32 s5, s5, s63
	s_addc_u32 s62, 0, s62
	s_add_u32 s5, s5, s60
	s_mul_hi_u32 s1, s59, s0
	s_addc_u32 s5, s62, s58
	s_addc_u32 s1, s1, 0
	s_mul_i32 s0, s59, s0
	s_add_u32 s0, s5, s0
	s_addc_u32 s5, 0, s1
	s_add_u32 s58, s61, s0
	s_cselect_b64 s[0:1], -1, 0
	s_cmp_lg_u64 s[0:1], 0
	v_add_co_u32_e32 v3, vcc, v6, v16
	s_addc_u32 s5, s59, s5
	v_xor_b32_e32 v3, v3, v16
	v_mad_u64_u32 v[10:11], s[0:1], v3, s5, 0
	v_mul_hi_u32 v13, v3, s58
	v_addc_co_u32_e32 v12, vcc, v7, v16, vcc
	v_xor_b32_e32 v14, v12, v16
	v_add_co_u32_e32 v15, vcc, v13, v10
	v_addc_co_u32_e32 v17, vcc, 0, v11, vcc
	v_mad_u64_u32 v[10:11], s[0:1], v14, s58, 0
	v_mad_u64_u32 v[12:13], s[0:1], v14, s5, 0
	v_add_co_u32_e32 v10, vcc, v15, v10
	v_addc_co_u32_e32 v10, vcc, v17, v11, vcc
	v_addc_co_u32_e32 v11, vcc, 0, v13, vcc
	v_add_co_u32_e32 v12, vcc, v10, v12
	v_addc_co_u32_e32 v13, vcc, 0, v11, vcc
	v_mul_lo_u32 v15, s57, v12
	v_mul_lo_u32 v17, s56, v13
	v_mad_u64_u32 v[10:11], s[0:1], s56, v12, 0
	v_add3_u32 v11, v11, v17, v15
	v_sub_u32_e32 v15, v14, v11
	v_mov_b32_e32 v17, s57
	v_sub_co_u32_e32 v3, vcc, v3, v10
	v_subb_co_u32_e64 v10, s[0:1], v15, v17, vcc
	v_subrev_co_u32_e64 v15, s[0:1], s56, v3
	v_subbrev_co_u32_e64 v10, s[0:1], 0, v10, s[0:1]
	v_cmp_le_u32_e64 s[0:1], s57, v10
	v_cndmask_b32_e64 v17, 0, -1, s[0:1]
	v_cmp_le_u32_e64 s[0:1], s56, v15
	v_cndmask_b32_e64 v15, 0, -1, s[0:1]
	v_cmp_eq_u32_e64 s[0:1], s57, v10
	v_cndmask_b32_e64 v10, v17, v15, s[0:1]
	v_add_co_u32_e64 v15, s[0:1], 2, v12
	v_subb_co_u32_e32 v11, vcc, v14, v11, vcc
	v_addc_co_u32_e64 v17, s[0:1], 0, v13, s[0:1]
	v_cmp_le_u32_e32 vcc, s57, v11
	v_add_co_u32_e64 v18, s[0:1], 1, v12
	v_cndmask_b32_e64 v14, 0, -1, vcc
	v_cmp_le_u32_e32 vcc, s56, v3
	v_addc_co_u32_e64 v19, s[0:1], 0, v13, s[0:1]
	v_cndmask_b32_e64 v3, 0, -1, vcc
	v_cmp_eq_u32_e32 vcc, s57, v11
	v_cmp_ne_u32_e64 s[0:1], 0, v10
	v_cndmask_b32_e32 v3, v14, v3, vcc
	v_cndmask_b32_e64 v10, v19, v17, s[0:1]
	v_cmp_ne_u32_e32 vcc, 0, v3
	v_cndmask_b32_e32 v3, v13, v10, vcc
	v_cndmask_b32_e64 v10, v18, v15, s[0:1]
	v_cndmask_b32_e32 v10, v12, v10, vcc
	v_xor_b32_e32 v11, s4, v16
	v_xor_b32_e32 v10, v10, v11
	;; [unrolled: 1-line block ×3, first 2 shown]
	v_sub_co_u32_e32 v10, vcc, v10, v11
	v_subb_co_u32_e32 v11, vcc, v3, v11, vcc
.LBB4_10:                               ;   in Loop: Header=BB4_4 Depth=1
	s_andn2_saveexec_b64 s[0:1], s[2:3]
	s_cbranch_execz .LBB4_12
; %bb.11:                               ;   in Loop: Header=BB4_4 Depth=1
	v_cvt_f32_u32_e32 v3, s18
	s_sub_i32 s2, 0, s18
	v_rcp_iflag_f32_e32 v3, v3
	v_mul_f32_e32 v3, 0x4f7ffffe, v3
	v_cvt_u32_f32_e32 v3, v3
	v_mul_lo_u32 v10, s2, v3
	v_mul_hi_u32 v10, v3, v10
	v_add_u32_e32 v3, v3, v10
	v_mul_hi_u32 v3, v6, v3
	v_mul_lo_u32 v10, v3, s18
	v_add_u32_e32 v11, 1, v3
	v_sub_u32_e32 v10, v6, v10
	v_subrev_u32_e32 v12, s18, v10
	v_cmp_le_u32_e32 vcc, s18, v10
	v_cndmask_b32_e32 v10, v10, v12, vcc
	v_cndmask_b32_e32 v3, v3, v11, vcc
	v_add_u32_e32 v11, 1, v3
	v_cmp_le_u32_e32 vcc, s18, v10
	v_cndmask_b32_e32 v10, v3, v11, vcc
	v_mov_b32_e32 v11, v2
.LBB4_12:                               ;   in Loop: Header=BB4_4 Depth=1
	s_or_b64 exec, exec, s[0:1]
	v_or_b32_e32 v3, s17, v11
	v_cmp_ne_u64_e32 vcc, 0, v[2:3]
                                        ; implicit-def: $vgpr12_vgpr13
	s_and_saveexec_b64 s[0:1], vcc
	s_xor_b64 s[4:5], exec, s[0:1]
	s_cbranch_execz .LBB4_14
; %bb.13:                               ;   in Loop: Header=BB4_4 Depth=1
	s_ashr_i32 s0, s17, 31
	s_add_u32 s2, s16, s0
	s_mov_b32 s1, s0
	s_addc_u32 s3, s17, s0
	s_xor_b64 s[56:57], s[2:3], s[0:1]
	v_cvt_f32_u32_e32 v3, s56
	v_cvt_f32_u32_e32 v12, s57
	s_sub_u32 s2, 0, s56
	s_subb_u32 s3, 0, s57
	v_mac_f32_e32 v3, 0x4f800000, v12
	v_rcp_f32_e32 v3, v3
	v_mul_f32_e32 v3, 0x5f7ffffc, v3
	v_mul_f32_e32 v12, 0x2f800000, v3
	v_trunc_f32_e32 v12, v12
	v_mac_f32_e32 v3, 0xcf800000, v12
	v_cvt_u32_f32_e32 v12, v12
	v_cvt_u32_f32_e32 v3, v3
	v_readfirstlane_b32 s58, v12
	v_readfirstlane_b32 s0, v3
	s_mul_i32 s1, s2, s58
	s_mul_hi_u32 s60, s2, s0
	s_mul_i32 s59, s3, s0
	s_add_i32 s1, s60, s1
	s_add_i32 s1, s1, s59
	s_mul_i32 s61, s2, s0
	s_mul_i32 s60, s0, s1
	s_mul_hi_u32 s62, s0, s61
	s_mul_hi_u32 s59, s0, s1
	s_add_u32 s60, s62, s60
	s_addc_u32 s59, 0, s59
	s_mul_hi_u32 s63, s58, s61
	s_mul_i32 s61, s58, s61
	s_add_u32 s60, s60, s61
	s_mul_hi_u32 s62, s58, s1
	s_addc_u32 s59, s59, s63
	s_addc_u32 s60, s62, 0
	s_mul_i32 s1, s58, s1
	s_add_u32 s1, s59, s1
	s_addc_u32 s59, 0, s60
	s_add_u32 s60, s0, s1
	s_cselect_b64 s[0:1], -1, 0
	s_cmp_lg_u64 s[0:1], 0
	s_addc_u32 s58, s58, s59
	s_mul_i32 s0, s2, s58
	s_mul_hi_u32 s1, s2, s60
	s_add_i32 s0, s1, s0
	s_mul_i32 s3, s3, s60
	s_add_i32 s0, s0, s3
	s_mul_i32 s2, s2, s60
	s_mul_hi_u32 s3, s58, s2
	s_mul_i32 s59, s58, s2
	s_mul_i32 s62, s60, s0
	s_mul_hi_u32 s2, s60, s2
	s_mul_hi_u32 s61, s60, s0
	s_add_u32 s2, s2, s62
	s_addc_u32 s61, 0, s61
	s_add_u32 s2, s2, s59
	s_mul_hi_u32 s1, s58, s0
	s_addc_u32 s2, s61, s3
	s_addc_u32 s1, s1, 0
	s_mul_i32 s0, s58, s0
	s_add_u32 s0, s2, s0
	s_addc_u32 s2, 0, s1
	s_add_u32 s3, s60, s0
	s_cselect_b64 s[0:1], -1, 0
	v_ashrrev_i32_e32 v3, 31, v11
	s_cmp_lg_u64 s[0:1], 0
	v_add_co_u32_e32 v12, vcc, v10, v3
	s_addc_u32 s2, s58, s2
	v_xor_b32_e32 v17, v12, v3
	v_mad_u64_u32 v[12:13], s[0:1], v17, s2, 0
	v_mul_hi_u32 v15, v17, s3
	v_addc_co_u32_e32 v14, vcc, v11, v3, vcc
	v_xor_b32_e32 v18, v14, v3
	v_add_co_u32_e32 v19, vcc, v15, v12
	v_addc_co_u32_e32 v20, vcc, 0, v13, vcc
	v_mad_u64_u32 v[12:13], s[0:1], v18, s3, 0
	v_mad_u64_u32 v[14:15], s[0:1], v18, s2, 0
	v_add_co_u32_e32 v12, vcc, v19, v12
	v_addc_co_u32_e32 v12, vcc, v20, v13, vcc
	v_addc_co_u32_e32 v13, vcc, 0, v15, vcc
	v_add_co_u32_e32 v12, vcc, v12, v14
	v_addc_co_u32_e32 v13, vcc, 0, v13, vcc
	v_mul_lo_u32 v14, s57, v12
	v_mul_lo_u32 v15, s56, v13
	v_mad_u64_u32 v[12:13], s[0:1], s56, v12, 0
	v_add3_u32 v13, v13, v15, v14
	v_sub_u32_e32 v14, v18, v13
	v_mov_b32_e32 v15, s57
	v_sub_co_u32_e32 v12, vcc, v17, v12
	v_subb_co_u32_e64 v14, s[0:1], v14, v15, vcc
	v_subrev_co_u32_e64 v17, s[0:1], s56, v12
	v_subbrev_co_u32_e64 v19, s[2:3], 0, v14, s[0:1]
	v_cmp_le_u32_e64 s[2:3], s57, v19
	v_cndmask_b32_e64 v20, 0, -1, s[2:3]
	v_cmp_le_u32_e64 s[2:3], s56, v17
	v_subb_co_u32_e64 v14, s[0:1], v14, v15, s[0:1]
	v_cndmask_b32_e64 v21, 0, -1, s[2:3]
	v_cmp_eq_u32_e64 s[2:3], s57, v19
	v_subrev_co_u32_e64 v15, s[0:1], s56, v17
	v_subb_co_u32_e32 v13, vcc, v18, v13, vcc
	v_cndmask_b32_e64 v20, v20, v21, s[2:3]
	v_subbrev_co_u32_e64 v14, s[0:1], 0, v14, s[0:1]
	v_cmp_le_u32_e32 vcc, s57, v13
	v_cmp_ne_u32_e64 s[0:1], 0, v20
	v_cndmask_b32_e64 v18, 0, -1, vcc
	v_cmp_le_u32_e32 vcc, s56, v12
	v_cndmask_b32_e64 v14, v19, v14, s[0:1]
	v_cndmask_b32_e64 v19, 0, -1, vcc
	v_cmp_eq_u32_e32 vcc, s57, v13
	v_cndmask_b32_e32 v18, v18, v19, vcc
	v_cmp_ne_u32_e32 vcc, 0, v18
	v_cndmask_b32_e32 v13, v13, v14, vcc
	v_cndmask_b32_e64 v14, v17, v15, s[0:1]
	v_cndmask_b32_e32 v12, v12, v14, vcc
	v_xor_b32_e32 v12, v12, v3
	v_xor_b32_e32 v13, v13, v3
	v_sub_co_u32_e32 v12, vcc, v12, v3
	v_subb_co_u32_e32 v13, vcc, v13, v3, vcc
.LBB4_14:                               ;   in Loop: Header=BB4_4 Depth=1
	s_andn2_saveexec_b64 s[0:1], s[4:5]
	s_cbranch_execz .LBB4_16
; %bb.15:                               ;   in Loop: Header=BB4_4 Depth=1
	v_cvt_f32_u32_e32 v3, s16
	s_sub_i32 s2, 0, s16
	v_mov_b32_e32 v13, v2
	v_rcp_iflag_f32_e32 v3, v3
	v_mul_f32_e32 v3, 0x4f7ffffe, v3
	v_cvt_u32_f32_e32 v3, v3
	v_mul_lo_u32 v12, s2, v3
	v_mul_hi_u32 v12, v3, v12
	v_add_u32_e32 v3, v3, v12
	v_mul_hi_u32 v3, v10, v3
	v_mul_lo_u32 v3, v3, s16
	v_sub_u32_e32 v3, v10, v3
	v_subrev_u32_e32 v12, s16, v3
	v_cmp_le_u32_e32 vcc, s16, v3
	v_cndmask_b32_e32 v3, v3, v12, vcc
	v_subrev_u32_e32 v12, s16, v3
	v_cmp_le_u32_e32 vcc, s16, v3
	v_cndmask_b32_e32 v12, v3, v12, vcc
.LBB4_16:                               ;   in Loop: Header=BB4_4 Depth=1
	s_or_b64 exec, exec, s[0:1]
	v_or_b32_e32 v3, s33, v7
	v_cmp_ne_u64_e32 vcc, 0, v[2:3]
                                        ; implicit-def: $vgpr14_vgpr15
	s_and_saveexec_b64 s[0:1], vcc
	s_xor_b64 s[2:3], exec, s[0:1]
	s_cbranch_execz .LBB4_18
; %bb.17:                               ;   in Loop: Header=BB4_4 Depth=1
	s_ashr_i32 s4, s33, 31
	s_add_u32 s0, s72, s4
	s_mov_b32 s5, s4
	s_addc_u32 s1, s33, s4
	s_xor_b64 s[56:57], s[0:1], s[4:5]
	v_cvt_f32_u32_e32 v3, s56
	v_cvt_f32_u32_e32 v14, s57
	s_sub_u32 s5, 0, s56
	s_subb_u32 s58, 0, s57
	v_mac_f32_e32 v3, 0x4f800000, v14
	v_rcp_f32_e32 v3, v3
	v_mul_f32_e32 v3, 0x5f7ffffc, v3
	v_mul_f32_e32 v14, 0x2f800000, v3
	v_trunc_f32_e32 v14, v14
	v_mac_f32_e32 v3, 0xcf800000, v14
	v_cvt_u32_f32_e32 v14, v14
	v_cvt_u32_f32_e32 v3, v3
	v_readfirstlane_b32 s59, v14
	v_readfirstlane_b32 s0, v3
	s_mul_i32 s1, s5, s59
	s_mul_hi_u32 s61, s5, s0
	s_mul_i32 s60, s58, s0
	s_add_i32 s1, s61, s1
	s_add_i32 s1, s1, s60
	s_mul_i32 s62, s5, s0
	s_mul_i32 s61, s0, s1
	s_mul_hi_u32 s63, s0, s62
	s_mul_hi_u32 s60, s0, s1
	s_add_u32 s61, s63, s61
	s_addc_u32 s60, 0, s60
	s_mul_hi_u32 s64, s59, s62
	s_mul_i32 s62, s59, s62
	s_add_u32 s61, s61, s62
	s_mul_hi_u32 s63, s59, s1
	s_addc_u32 s60, s60, s64
	s_addc_u32 s61, s63, 0
	s_mul_i32 s1, s59, s1
	s_add_u32 s1, s60, s1
	s_addc_u32 s60, 0, s61
	s_add_u32 s61, s0, s1
	s_cselect_b64 s[0:1], -1, 0
	s_cmp_lg_u64 s[0:1], 0
	s_addc_u32 s59, s59, s60
	s_mul_i32 s0, s5, s59
	s_mul_hi_u32 s1, s5, s61
	s_add_i32 s0, s1, s0
	s_mul_i32 s58, s58, s61
	s_add_i32 s0, s0, s58
	s_mul_i32 s5, s5, s61
	s_mul_hi_u32 s58, s59, s5
	s_mul_i32 s60, s59, s5
	s_mul_i32 s63, s61, s0
	s_mul_hi_u32 s5, s61, s5
	s_mul_hi_u32 s62, s61, s0
	s_add_u32 s5, s5, s63
	s_addc_u32 s62, 0, s62
	s_add_u32 s5, s5, s60
	s_mul_hi_u32 s1, s59, s0
	s_addc_u32 s5, s62, s58
	s_addc_u32 s1, s1, 0
	s_mul_i32 s0, s59, s0
	s_add_u32 s0, s5, s0
	s_addc_u32 s5, 0, s1
	s_add_u32 s58, s61, s0
	s_cselect_b64 s[0:1], -1, 0
	s_cmp_lg_u64 s[0:1], 0
	v_add_co_u32_e32 v3, vcc, v6, v16
	s_addc_u32 s5, s59, s5
	v_xor_b32_e32 v3, v3, v16
	v_mad_u64_u32 v[14:15], s[0:1], v3, s5, 0
	v_mul_hi_u32 v18, v3, s58
	v_addc_co_u32_e32 v17, vcc, v7, v16, vcc
	v_xor_b32_e32 v19, v17, v16
	v_add_co_u32_e32 v20, vcc, v18, v14
	v_addc_co_u32_e32 v21, vcc, 0, v15, vcc
	v_mad_u64_u32 v[14:15], s[0:1], v19, s58, 0
	v_mad_u64_u32 v[17:18], s[0:1], v19, s5, 0
	v_add_co_u32_e32 v14, vcc, v20, v14
	v_addc_co_u32_e32 v14, vcc, v21, v15, vcc
	v_addc_co_u32_e32 v15, vcc, 0, v18, vcc
	v_add_co_u32_e32 v17, vcc, v14, v17
	v_addc_co_u32_e32 v18, vcc, 0, v15, vcc
	v_mul_lo_u32 v20, s57, v17
	v_mul_lo_u32 v21, s56, v18
	v_mad_u64_u32 v[14:15], s[0:1], s56, v17, 0
	v_add3_u32 v15, v15, v21, v20
	v_sub_u32_e32 v20, v19, v15
	v_mov_b32_e32 v21, s57
	v_sub_co_u32_e32 v3, vcc, v3, v14
	v_subb_co_u32_e64 v14, s[0:1], v20, v21, vcc
	v_subrev_co_u32_e64 v20, s[0:1], s56, v3
	v_subbrev_co_u32_e64 v14, s[0:1], 0, v14, s[0:1]
	v_cmp_le_u32_e64 s[0:1], s57, v14
	v_cndmask_b32_e64 v21, 0, -1, s[0:1]
	v_cmp_le_u32_e64 s[0:1], s56, v20
	v_cndmask_b32_e64 v20, 0, -1, s[0:1]
	v_cmp_eq_u32_e64 s[0:1], s57, v14
	v_cndmask_b32_e64 v14, v21, v20, s[0:1]
	v_add_co_u32_e64 v20, s[0:1], 2, v17
	v_subb_co_u32_e32 v15, vcc, v19, v15, vcc
	v_addc_co_u32_e64 v21, s[0:1], 0, v18, s[0:1]
	v_cmp_le_u32_e32 vcc, s57, v15
	v_add_co_u32_e64 v22, s[0:1], 1, v17
	v_cndmask_b32_e64 v19, 0, -1, vcc
	v_cmp_le_u32_e32 vcc, s56, v3
	v_addc_co_u32_e64 v23, s[0:1], 0, v18, s[0:1]
	v_cndmask_b32_e64 v3, 0, -1, vcc
	v_cmp_eq_u32_e32 vcc, s57, v15
	v_cmp_ne_u32_e64 s[0:1], 0, v14
	v_cndmask_b32_e32 v3, v19, v3, vcc
	v_cndmask_b32_e64 v14, v23, v21, s[0:1]
	v_cmp_ne_u32_e32 vcc, 0, v3
	v_cndmask_b32_e32 v3, v18, v14, vcc
	v_cndmask_b32_e64 v14, v22, v20, s[0:1]
	v_cndmask_b32_e32 v14, v17, v14, vcc
	v_xor_b32_e32 v15, s4, v16
	v_xor_b32_e32 v14, v14, v15
	v_xor_b32_e32 v3, v3, v15
	v_sub_co_u32_e32 v14, vcc, v14, v15
	v_subb_co_u32_e32 v15, vcc, v3, v15, vcc
.LBB4_18:                               ;   in Loop: Header=BB4_4 Depth=1
	s_andn2_saveexec_b64 s[0:1], s[2:3]
	s_cbranch_execz .LBB4_20
; %bb.19:                               ;   in Loop: Header=BB4_4 Depth=1
	v_cvt_f32_u32_e32 v3, s72
	s_sub_i32 s2, 0, s72
	v_rcp_iflag_f32_e32 v3, v3
	v_mul_f32_e32 v3, 0x4f7ffffe, v3
	v_cvt_u32_f32_e32 v3, v3
	v_mul_lo_u32 v14, s2, v3
	v_mul_hi_u32 v14, v3, v14
	v_add_u32_e32 v3, v3, v14
	v_mul_hi_u32 v3, v6, v3
	v_mul_lo_u32 v14, v3, s72
	v_add_u32_e32 v15, 1, v3
	v_sub_u32_e32 v14, v6, v14
	v_subrev_u32_e32 v16, s72, v14
	v_cmp_le_u32_e32 vcc, s72, v14
	v_cndmask_b32_e32 v14, v14, v16, vcc
	v_cndmask_b32_e32 v3, v3, v15, vcc
	v_add_u32_e32 v15, 1, v3
	v_cmp_le_u32_e32 vcc, s72, v14
	v_cndmask_b32_e32 v14, v3, v15, vcc
	v_mov_b32_e32 v15, v2
.LBB4_20:                               ;   in Loop: Header=BB4_4 Depth=1
	s_or_b64 exec, exec, s[0:1]
	v_mul_lo_u32 v3, v11, s18
	v_mul_lo_u32 v11, v10, s19
	v_mad_u64_u32 v[16:17], s[0:1], v10, s18, 0
	v_add3_u32 v17, v17, v11, v3
	v_sub_co_u32_e32 v3, vcc, v6, v16
	v_subb_co_u32_e32 v10, vcc, v7, v17, vcc
	v_mov_b32_e32 v11, s39
	v_add_co_u32_e32 v18, vcc, s38, v3
	v_addc_co_u32_e32 v19, vcc, v10, v11, vcc
	v_cmp_lt_i64_e32 vcc, s[14:15], v[18:19]
	v_mov_b32_e32 v10, 0
	v_mov_b32_e32 v11, 0
	s_and_saveexec_b64 s[2:3], vcc
	s_cbranch_execz .LBB4_26
; %bb.21:                               ;   in Loop: Header=BB4_4 Depth=1
	v_mov_b32_e32 v3, s35
	v_add_co_u32_e32 v20, vcc, s34, v18
	v_addc_co_u32_e32 v21, vcc, v19, v3, vcc
	v_or_b32_e32 v3, s43, v21
	v_cmp_ne_u64_e32 vcc, 0, v[2:3]
                                        ; implicit-def: $vgpr10_vgpr11
	s_and_saveexec_b64 s[0:1], vcc
	s_xor_b64 s[4:5], exec, s[0:1]
	s_cbranch_execz .LBB4_23
; %bb.22:                               ;   in Loop: Header=BB4_4 Depth=1
	s_ashr_i32 s56, s43, 31
	s_add_u32 s0, s42, s56
	s_mov_b32 s57, s56
	s_addc_u32 s1, s43, s56
	s_xor_b64 s[58:59], s[0:1], s[56:57]
	v_cvt_f32_u32_e32 v3, s58
	v_cvt_f32_u32_e32 v10, s59
	s_sub_u32 s57, 0, s58
	s_subb_u32 s60, 0, s59
	v_mac_f32_e32 v3, 0x4f800000, v10
	v_rcp_f32_e32 v3, v3
	v_mul_f32_e32 v3, 0x5f7ffffc, v3
	v_mul_f32_e32 v10, 0x2f800000, v3
	v_trunc_f32_e32 v10, v10
	v_mac_f32_e32 v3, 0xcf800000, v10
	v_cvt_u32_f32_e32 v10, v10
	v_cvt_u32_f32_e32 v3, v3
	v_readfirstlane_b32 s61, v10
	v_readfirstlane_b32 s0, v3
	s_mul_i32 s1, s57, s61
	s_mul_hi_u32 s63, s57, s0
	s_mul_i32 s62, s60, s0
	s_add_i32 s1, s63, s1
	s_add_i32 s1, s1, s62
	s_mul_i32 s64, s57, s0
	s_mul_i32 s63, s0, s1
	s_mul_hi_u32 s65, s0, s64
	s_mul_hi_u32 s62, s0, s1
	s_add_u32 s63, s65, s63
	s_addc_u32 s62, 0, s62
	s_mul_hi_u32 s66, s61, s64
	s_mul_i32 s64, s61, s64
	s_add_u32 s63, s63, s64
	s_mul_hi_u32 s65, s61, s1
	s_addc_u32 s62, s62, s66
	s_addc_u32 s63, s65, 0
	s_mul_i32 s1, s61, s1
	s_add_u32 s1, s62, s1
	s_addc_u32 s62, 0, s63
	s_add_u32 s63, s0, s1
	s_cselect_b64 s[0:1], -1, 0
	s_cmp_lg_u64 s[0:1], 0
	s_addc_u32 s61, s61, s62
	s_mul_i32 s0, s57, s61
	s_mul_hi_u32 s1, s57, s63
	s_add_i32 s0, s1, s0
	s_mul_i32 s60, s60, s63
	s_add_i32 s0, s0, s60
	s_mul_i32 s57, s57, s63
	s_mul_hi_u32 s60, s61, s57
	s_mul_i32 s62, s61, s57
	s_mul_i32 s65, s63, s0
	s_mul_hi_u32 s57, s63, s57
	s_mul_hi_u32 s64, s63, s0
	s_add_u32 s57, s57, s65
	s_addc_u32 s64, 0, s64
	s_add_u32 s57, s57, s62
	s_mul_hi_u32 s1, s61, s0
	s_addc_u32 s57, s64, s60
	s_addc_u32 s1, s1, 0
	s_mul_i32 s0, s61, s0
	s_add_u32 s0, s57, s0
	s_addc_u32 s57, 0, s1
	s_add_u32 s60, s63, s0
	s_cselect_b64 s[0:1], -1, 0
	v_ashrrev_i32_e32 v3, 31, v21
	s_cmp_lg_u64 s[0:1], 0
	v_add_co_u32_e32 v10, vcc, v20, v3
	s_addc_u32 s57, s61, s57
	v_xor_b32_e32 v22, v10, v3
	v_addc_co_u32_e32 v20, vcc, v21, v3, vcc
	v_mad_u64_u32 v[10:11], s[0:1], v22, s57, 0
	v_mul_hi_u32 v21, v22, s60
	v_xor_b32_e32 v23, v20, v3
	v_xor_b32_e32 v3, s56, v3
	v_add_co_u32_e32 v24, vcc, v21, v10
	v_addc_co_u32_e32 v25, vcc, 0, v11, vcc
	v_mad_u64_u32 v[10:11], s[0:1], v23, s60, 0
	v_mad_u64_u32 v[20:21], s[0:1], v23, s57, 0
	v_add_co_u32_e32 v10, vcc, v24, v10
	v_addc_co_u32_e32 v10, vcc, v25, v11, vcc
	v_addc_co_u32_e32 v11, vcc, 0, v21, vcc
	v_add_co_u32_e32 v20, vcc, v10, v20
	v_addc_co_u32_e32 v21, vcc, 0, v11, vcc
	v_mul_lo_u32 v24, s59, v20
	v_mul_lo_u32 v25, s58, v21
	v_mad_u64_u32 v[10:11], s[0:1], s58, v20, 0
	v_add3_u32 v11, v11, v25, v24
	v_sub_u32_e32 v24, v23, v11
	v_mov_b32_e32 v25, s59
	v_sub_co_u32_e32 v10, vcc, v22, v10
	v_subb_co_u32_e64 v22, s[0:1], v24, v25, vcc
	v_subrev_co_u32_e64 v24, s[0:1], s58, v10
	v_subbrev_co_u32_e64 v22, s[0:1], 0, v22, s[0:1]
	v_cmp_le_u32_e64 s[0:1], s59, v22
	v_cndmask_b32_e64 v25, 0, -1, s[0:1]
	v_cmp_le_u32_e64 s[0:1], s58, v24
	v_cndmask_b32_e64 v24, 0, -1, s[0:1]
	v_cmp_eq_u32_e64 s[0:1], s59, v22
	v_cndmask_b32_e64 v22, v25, v24, s[0:1]
	v_add_co_u32_e64 v24, s[0:1], 2, v20
	v_subb_co_u32_e32 v11, vcc, v23, v11, vcc
	v_addc_co_u32_e64 v25, s[0:1], 0, v21, s[0:1]
	v_cmp_le_u32_e32 vcc, s59, v11
	v_add_co_u32_e64 v26, s[0:1], 1, v20
	v_cndmask_b32_e64 v23, 0, -1, vcc
	v_cmp_le_u32_e32 vcc, s58, v10
	v_addc_co_u32_e64 v27, s[0:1], 0, v21, s[0:1]
	v_cndmask_b32_e64 v10, 0, -1, vcc
	v_cmp_eq_u32_e32 vcc, s59, v11
	v_cmp_ne_u32_e64 s[0:1], 0, v22
	v_cndmask_b32_e32 v10, v23, v10, vcc
	v_cndmask_b32_e64 v22, v27, v25, s[0:1]
	v_cmp_ne_u32_e32 vcc, 0, v10
	v_cndmask_b32_e64 v11, v26, v24, s[0:1]
	v_cndmask_b32_e32 v10, v21, v22, vcc
	v_cndmask_b32_e32 v11, v20, v11, vcc
	v_xor_b32_e32 v20, v10, v3
	v_xor_b32_e32 v10, v11, v3
	v_sub_co_u32_e32 v10, vcc, v10, v3
	v_subb_co_u32_e32 v11, vcc, v20, v3, vcc
                                        ; implicit-def: $vgpr20
.LBB4_23:                               ;   in Loop: Header=BB4_4 Depth=1
	s_andn2_saveexec_b64 s[0:1], s[4:5]
	s_cbranch_execz .LBB4_25
; %bb.24:                               ;   in Loop: Header=BB4_4 Depth=1
	v_cvt_f32_u32_e32 v3, s42
	s_sub_i32 s4, 0, s42
	v_rcp_iflag_f32_e32 v3, v3
	v_mul_f32_e32 v3, 0x4f7ffffe, v3
	v_cvt_u32_f32_e32 v3, v3
	v_mul_lo_u32 v10, s4, v3
	v_mul_hi_u32 v10, v3, v10
	v_add_u32_e32 v3, v3, v10
	v_mul_hi_u32 v3, v20, v3
	v_mul_lo_u32 v10, v3, s42
	v_add_u32_e32 v11, 1, v3
	v_sub_u32_e32 v10, v20, v10
	v_subrev_u32_e32 v20, s42, v10
	v_cmp_le_u32_e32 vcc, s42, v10
	v_cndmask_b32_e32 v10, v10, v20, vcc
	v_cndmask_b32_e32 v3, v3, v11, vcc
	v_add_u32_e32 v11, 1, v3
	v_cmp_le_u32_e32 vcc, s42, v10
	v_cndmask_b32_e32 v10, v3, v11, vcc
	v_mov_b32_e32 v11, v2
.LBB4_25:                               ;   in Loop: Header=BB4_4 Depth=1
	s_or_b64 exec, exec, s[0:1]
	v_add_co_u32_e32 v10, vcc, 1, v10
	v_addc_co_u32_e32 v11, vcc, 0, v11, vcc
.LBB4_26:                               ;   in Loop: Header=BB4_4 Depth=1
	s_or_b64 exec, exec, s[2:3]
	v_or_b32_e32 v3, s43, v19
	v_cmp_ne_u64_e32 vcc, 0, v[2:3]
                                        ; implicit-def: $vgpr22_vgpr23
	s_and_saveexec_b64 s[0:1], vcc
	s_xor_b64 s[2:3], exec, s[0:1]
	s_cbranch_execz .LBB4_28
; %bb.27:                               ;   in Loop: Header=BB4_4 Depth=1
	s_ashr_i32 s4, s43, 31
	s_add_u32 s0, s42, s4
	s_mov_b32 s5, s4
	s_addc_u32 s1, s43, s4
	s_xor_b64 s[56:57], s[0:1], s[4:5]
	v_cvt_f32_u32_e32 v3, s56
	v_cvt_f32_u32_e32 v20, s57
	s_sub_u32 s5, 0, s56
	s_subb_u32 s58, 0, s57
	v_mac_f32_e32 v3, 0x4f800000, v20
	v_rcp_f32_e32 v3, v3
	v_mul_f32_e32 v3, 0x5f7ffffc, v3
	v_mul_f32_e32 v20, 0x2f800000, v3
	v_trunc_f32_e32 v20, v20
	v_mac_f32_e32 v3, 0xcf800000, v20
	v_cvt_u32_f32_e32 v20, v20
	v_cvt_u32_f32_e32 v3, v3
	v_readfirstlane_b32 s59, v20
	v_readfirstlane_b32 s0, v3
	s_mul_i32 s1, s5, s59
	s_mul_hi_u32 s61, s5, s0
	s_mul_i32 s60, s58, s0
	s_add_i32 s1, s61, s1
	s_add_i32 s1, s1, s60
	s_mul_i32 s62, s5, s0
	s_mul_i32 s61, s0, s1
	s_mul_hi_u32 s63, s0, s62
	s_mul_hi_u32 s60, s0, s1
	s_add_u32 s61, s63, s61
	s_addc_u32 s60, 0, s60
	s_mul_hi_u32 s64, s59, s62
	s_mul_i32 s62, s59, s62
	s_add_u32 s61, s61, s62
	s_mul_hi_u32 s63, s59, s1
	s_addc_u32 s60, s60, s64
	s_addc_u32 s61, s63, 0
	s_mul_i32 s1, s59, s1
	s_add_u32 s1, s60, s1
	s_addc_u32 s60, 0, s61
	s_add_u32 s61, s0, s1
	s_cselect_b64 s[0:1], -1, 0
	s_cmp_lg_u64 s[0:1], 0
	s_addc_u32 s59, s59, s60
	s_mul_i32 s0, s5, s59
	s_mul_hi_u32 s1, s5, s61
	s_add_i32 s0, s1, s0
	s_mul_i32 s58, s58, s61
	s_add_i32 s0, s0, s58
	s_mul_i32 s5, s5, s61
	s_mul_hi_u32 s58, s59, s5
	s_mul_i32 s60, s59, s5
	s_mul_i32 s63, s61, s0
	s_mul_hi_u32 s5, s61, s5
	s_mul_hi_u32 s62, s61, s0
	s_add_u32 s5, s5, s63
	s_addc_u32 s62, 0, s62
	s_add_u32 s5, s5, s60
	s_mul_hi_u32 s1, s59, s0
	s_addc_u32 s5, s62, s58
	s_addc_u32 s1, s1, 0
	s_mul_i32 s0, s59, s0
	s_add_u32 s0, s5, s0
	s_addc_u32 s5, 0, s1
	s_add_u32 s58, s61, s0
	s_cselect_b64 s[0:1], -1, 0
	v_ashrrev_i32_e32 v3, 31, v19
	s_cmp_lg_u64 s[0:1], 0
	v_add_co_u32_e32 v18, vcc, v18, v3
	s_addc_u32 s5, s59, s5
	v_xor_b32_e32 v22, v18, v3
	v_addc_co_u32_e32 v20, vcc, v19, v3, vcc
	v_mad_u64_u32 v[18:19], s[0:1], v22, s5, 0
	v_mul_hi_u32 v21, v22, s58
	v_xor_b32_e32 v23, v20, v3
	v_xor_b32_e32 v3, s4, v3
	v_add_co_u32_e32 v24, vcc, v21, v18
	v_addc_co_u32_e32 v25, vcc, 0, v19, vcc
	v_mad_u64_u32 v[18:19], s[0:1], v23, s58, 0
	v_mad_u64_u32 v[20:21], s[0:1], v23, s5, 0
	v_add_co_u32_e32 v18, vcc, v24, v18
	v_addc_co_u32_e32 v18, vcc, v25, v19, vcc
	v_addc_co_u32_e32 v19, vcc, 0, v21, vcc
	v_add_co_u32_e32 v20, vcc, v18, v20
	v_addc_co_u32_e32 v21, vcc, 0, v19, vcc
	v_mul_lo_u32 v24, s57, v20
	v_mul_lo_u32 v25, s56, v21
	v_mad_u64_u32 v[18:19], s[0:1], s56, v20, 0
	v_add3_u32 v19, v19, v25, v24
	v_sub_u32_e32 v24, v23, v19
	v_mov_b32_e32 v25, s57
	v_sub_co_u32_e32 v18, vcc, v22, v18
	v_subb_co_u32_e64 v22, s[0:1], v24, v25, vcc
	v_subrev_co_u32_e64 v24, s[0:1], s56, v18
	v_subbrev_co_u32_e64 v22, s[0:1], 0, v22, s[0:1]
	v_cmp_le_u32_e64 s[0:1], s57, v22
	v_cndmask_b32_e64 v25, 0, -1, s[0:1]
	v_cmp_le_u32_e64 s[0:1], s56, v24
	v_cndmask_b32_e64 v24, 0, -1, s[0:1]
	v_cmp_eq_u32_e64 s[0:1], s57, v22
	v_cndmask_b32_e64 v22, v25, v24, s[0:1]
	v_add_co_u32_e64 v24, s[0:1], 2, v20
	v_subb_co_u32_e32 v19, vcc, v23, v19, vcc
	v_addc_co_u32_e64 v25, s[0:1], 0, v21, s[0:1]
	v_cmp_le_u32_e32 vcc, s57, v19
	v_add_co_u32_e64 v26, s[0:1], 1, v20
	v_cndmask_b32_e64 v23, 0, -1, vcc
	v_cmp_le_u32_e32 vcc, s56, v18
	v_addc_co_u32_e64 v27, s[0:1], 0, v21, s[0:1]
	v_cndmask_b32_e64 v18, 0, -1, vcc
	v_cmp_eq_u32_e32 vcc, s57, v19
	v_cmp_ne_u32_e64 s[0:1], 0, v22
	v_cndmask_b32_e32 v18, v23, v18, vcc
	v_cmp_ne_u32_e32 vcc, 0, v18
	v_cndmask_b32_e64 v19, v26, v24, s[0:1]
	v_cndmask_b32_e64 v22, v27, v25, s[0:1]
	v_cndmask_b32_e32 v19, v20, v19, vcc
	v_cndmask_b32_e32 v18, v21, v22, vcc
	v_xor_b32_e32 v19, v19, v3
	v_xor_b32_e32 v18, v18, v3
	v_sub_co_u32_e32 v22, vcc, v19, v3
	v_subb_co_u32_e32 v23, vcc, v18, v3, vcc
                                        ; implicit-def: $vgpr18
.LBB4_28:                               ;   in Loop: Header=BB4_4 Depth=1
	s_andn2_saveexec_b64 s[0:1], s[2:3]
	s_cbranch_execz .LBB4_30
; %bb.29:                               ;   in Loop: Header=BB4_4 Depth=1
	v_cvt_f32_u32_e32 v3, s42
	s_sub_i32 s2, 0, s42
	v_mov_b32_e32 v23, v2
	v_rcp_iflag_f32_e32 v3, v3
	v_mul_f32_e32 v3, 0x4f7ffffe, v3
	v_cvt_u32_f32_e32 v3, v3
	v_mul_lo_u32 v19, s2, v3
	v_mul_hi_u32 v19, v3, v19
	v_add_u32_e32 v3, v3, v19
	v_mul_hi_u32 v3, v18, v3
	v_mul_lo_u32 v19, v3, s42
	v_add_u32_e32 v20, 1, v3
	v_sub_u32_e32 v18, v18, v19
	v_subrev_u32_e32 v19, s42, v18
	v_cmp_le_u32_e32 vcc, s42, v18
	v_cndmask_b32_e32 v18, v18, v19, vcc
	v_cndmask_b32_e32 v3, v3, v20, vcc
	v_add_u32_e32 v19, 1, v3
	v_cmp_le_u32_e32 vcc, s42, v18
	v_cndmask_b32_e32 v22, v3, v19, vcc
.LBB4_30:                               ;   in Loop: Header=BB4_4 Depth=1
	s_or_b64 exec, exec, s[0:1]
	v_mov_b32_e32 v3, s37
	v_add_co_u32_e32 v12, vcc, s36, v12
	v_addc_co_u32_e32 v13, vcc, v13, v3, vcc
	v_cmp_lt_i64_e32 vcc, s[28:29], v[12:13]
	v_mov_b32_e32 v18, 0
	v_mov_b32_e32 v19, 0
	s_and_saveexec_b64 s[2:3], vcc
	s_cbranch_execz .LBB4_36
; %bb.31:                               ;   in Loop: Header=BB4_4 Depth=1
	v_mov_b32_e32 v3, s31
	v_add_co_u32_e32 v20, vcc, s30, v12
	v_addc_co_u32_e32 v21, vcc, v13, v3, vcc
	v_or_b32_e32 v3, s41, v21
	v_cmp_ne_u64_e32 vcc, 0, v[2:3]
                                        ; implicit-def: $vgpr18_vgpr19
	s_and_saveexec_b64 s[0:1], vcc
	s_xor_b64 s[4:5], exec, s[0:1]
	s_cbranch_execz .LBB4_33
; %bb.32:                               ;   in Loop: Header=BB4_4 Depth=1
	s_ashr_i32 s56, s41, 31
	s_add_u32 s0, s40, s56
	s_mov_b32 s57, s56
	s_addc_u32 s1, s41, s56
	s_xor_b64 s[58:59], s[0:1], s[56:57]
	v_cvt_f32_u32_e32 v3, s58
	v_cvt_f32_u32_e32 v18, s59
	s_sub_u32 s57, 0, s58
	s_subb_u32 s60, 0, s59
	v_mac_f32_e32 v3, 0x4f800000, v18
	v_rcp_f32_e32 v3, v3
	v_mul_f32_e32 v3, 0x5f7ffffc, v3
	v_mul_f32_e32 v18, 0x2f800000, v3
	v_trunc_f32_e32 v18, v18
	v_mac_f32_e32 v3, 0xcf800000, v18
	v_cvt_u32_f32_e32 v18, v18
	v_cvt_u32_f32_e32 v3, v3
	v_readfirstlane_b32 s61, v18
	v_readfirstlane_b32 s0, v3
	s_mul_i32 s1, s57, s61
	s_mul_hi_u32 s63, s57, s0
	s_mul_i32 s62, s60, s0
	s_add_i32 s1, s63, s1
	s_add_i32 s1, s1, s62
	s_mul_i32 s64, s57, s0
	s_mul_i32 s63, s0, s1
	s_mul_hi_u32 s65, s0, s64
	s_mul_hi_u32 s62, s0, s1
	s_add_u32 s63, s65, s63
	s_addc_u32 s62, 0, s62
	s_mul_hi_u32 s66, s61, s64
	s_mul_i32 s64, s61, s64
	s_add_u32 s63, s63, s64
	s_mul_hi_u32 s65, s61, s1
	s_addc_u32 s62, s62, s66
	s_addc_u32 s63, s65, 0
	s_mul_i32 s1, s61, s1
	s_add_u32 s1, s62, s1
	s_addc_u32 s62, 0, s63
	s_add_u32 s63, s0, s1
	s_cselect_b64 s[0:1], -1, 0
	s_cmp_lg_u64 s[0:1], 0
	s_addc_u32 s61, s61, s62
	s_mul_i32 s0, s57, s61
	s_mul_hi_u32 s1, s57, s63
	s_add_i32 s0, s1, s0
	s_mul_i32 s60, s60, s63
	s_add_i32 s0, s0, s60
	s_mul_i32 s57, s57, s63
	s_mul_hi_u32 s60, s61, s57
	s_mul_i32 s62, s61, s57
	s_mul_i32 s65, s63, s0
	s_mul_hi_u32 s57, s63, s57
	s_mul_hi_u32 s64, s63, s0
	s_add_u32 s57, s57, s65
	s_addc_u32 s64, 0, s64
	s_add_u32 s57, s57, s62
	s_mul_hi_u32 s1, s61, s0
	s_addc_u32 s57, s64, s60
	s_addc_u32 s1, s1, 0
	s_mul_i32 s0, s61, s0
	s_add_u32 s0, s57, s0
	s_addc_u32 s57, 0, s1
	s_add_u32 s60, s63, s0
	s_cselect_b64 s[0:1], -1, 0
	v_ashrrev_i32_e32 v3, 31, v21
	s_cmp_lg_u64 s[0:1], 0
	v_add_co_u32_e32 v18, vcc, v20, v3
	s_addc_u32 s57, s61, s57
	v_xor_b32_e32 v24, v18, v3
	v_addc_co_u32_e32 v20, vcc, v21, v3, vcc
	v_mad_u64_u32 v[18:19], s[0:1], v24, s57, 0
	v_mul_hi_u32 v21, v24, s60
	v_xor_b32_e32 v25, v20, v3
	v_xor_b32_e32 v3, s56, v3
	v_add_co_u32_e32 v26, vcc, v21, v18
	v_addc_co_u32_e32 v27, vcc, 0, v19, vcc
	v_mad_u64_u32 v[18:19], s[0:1], v25, s60, 0
	v_mad_u64_u32 v[20:21], s[0:1], v25, s57, 0
	v_add_co_u32_e32 v18, vcc, v26, v18
	v_addc_co_u32_e32 v18, vcc, v27, v19, vcc
	v_addc_co_u32_e32 v19, vcc, 0, v21, vcc
	v_add_co_u32_e32 v20, vcc, v18, v20
	v_addc_co_u32_e32 v21, vcc, 0, v19, vcc
	v_mul_lo_u32 v26, s59, v20
	v_mul_lo_u32 v27, s58, v21
	v_mad_u64_u32 v[18:19], s[0:1], s58, v20, 0
	v_add3_u32 v19, v19, v27, v26
	v_sub_u32_e32 v26, v25, v19
	v_mov_b32_e32 v27, s59
	v_sub_co_u32_e32 v18, vcc, v24, v18
	v_subb_co_u32_e64 v24, s[0:1], v26, v27, vcc
	v_subrev_co_u32_e64 v26, s[0:1], s58, v18
	v_subbrev_co_u32_e64 v24, s[0:1], 0, v24, s[0:1]
	v_cmp_le_u32_e64 s[0:1], s59, v24
	v_cndmask_b32_e64 v27, 0, -1, s[0:1]
	v_cmp_le_u32_e64 s[0:1], s58, v26
	v_cndmask_b32_e64 v26, 0, -1, s[0:1]
	v_cmp_eq_u32_e64 s[0:1], s59, v24
	v_cndmask_b32_e64 v24, v27, v26, s[0:1]
	v_add_co_u32_e64 v26, s[0:1], 2, v20
	v_subb_co_u32_e32 v19, vcc, v25, v19, vcc
	v_addc_co_u32_e64 v27, s[0:1], 0, v21, s[0:1]
	v_cmp_le_u32_e32 vcc, s59, v19
	v_add_co_u32_e64 v28, s[0:1], 1, v20
	v_cndmask_b32_e64 v25, 0, -1, vcc
	v_cmp_le_u32_e32 vcc, s58, v18
	v_addc_co_u32_e64 v29, s[0:1], 0, v21, s[0:1]
	v_cndmask_b32_e64 v18, 0, -1, vcc
	v_cmp_eq_u32_e32 vcc, s59, v19
	v_cmp_ne_u32_e64 s[0:1], 0, v24
	v_cndmask_b32_e32 v18, v25, v18, vcc
	v_cndmask_b32_e64 v24, v29, v27, s[0:1]
	v_cmp_ne_u32_e32 vcc, 0, v18
	v_cndmask_b32_e64 v19, v28, v26, s[0:1]
	v_cndmask_b32_e32 v18, v21, v24, vcc
	v_cndmask_b32_e32 v19, v20, v19, vcc
	v_xor_b32_e32 v20, v18, v3
	v_xor_b32_e32 v18, v19, v3
	v_sub_co_u32_e32 v18, vcc, v18, v3
	v_subb_co_u32_e32 v19, vcc, v20, v3, vcc
                                        ; implicit-def: $vgpr20
.LBB4_33:                               ;   in Loop: Header=BB4_4 Depth=1
	s_andn2_saveexec_b64 s[0:1], s[4:5]
	s_cbranch_execz .LBB4_35
; %bb.34:                               ;   in Loop: Header=BB4_4 Depth=1
	v_cvt_f32_u32_e32 v3, s40
	s_sub_i32 s4, 0, s40
	v_rcp_iflag_f32_e32 v3, v3
	v_mul_f32_e32 v3, 0x4f7ffffe, v3
	v_cvt_u32_f32_e32 v3, v3
	v_mul_lo_u32 v18, s4, v3
	v_mul_hi_u32 v18, v3, v18
	v_add_u32_e32 v3, v3, v18
	v_mul_hi_u32 v3, v20, v3
	v_mul_lo_u32 v18, v3, s40
	v_add_u32_e32 v19, 1, v3
	v_sub_u32_e32 v18, v20, v18
	v_subrev_u32_e32 v20, s40, v18
	v_cmp_le_u32_e32 vcc, s40, v18
	v_cndmask_b32_e32 v18, v18, v20, vcc
	v_cndmask_b32_e32 v3, v3, v19, vcc
	v_add_u32_e32 v19, 1, v3
	v_cmp_le_u32_e32 vcc, s40, v18
	v_cndmask_b32_e32 v18, v3, v19, vcc
	v_mov_b32_e32 v19, v2
.LBB4_35:                               ;   in Loop: Header=BB4_4 Depth=1
	s_or_b64 exec, exec, s[0:1]
	v_add_co_u32_e32 v18, vcc, 1, v18
	v_addc_co_u32_e32 v19, vcc, 0, v19, vcc
.LBB4_36:                               ;   in Loop: Header=BB4_4 Depth=1
	s_or_b64 exec, exec, s[2:3]
	v_or_b32_e32 v3, s41, v13
	v_cmp_ne_u64_e32 vcc, 0, v[2:3]
                                        ; implicit-def: $vgpr20_vgpr21
	s_and_saveexec_b64 s[0:1], vcc
	s_xor_b64 s[2:3], exec, s[0:1]
	s_cbranch_execz .LBB4_38
; %bb.37:                               ;   in Loop: Header=BB4_4 Depth=1
	s_ashr_i32 s4, s41, 31
	s_add_u32 s0, s40, s4
	s_mov_b32 s5, s4
	s_addc_u32 s1, s41, s4
	s_xor_b64 s[56:57], s[0:1], s[4:5]
	v_cvt_f32_u32_e32 v3, s56
	v_cvt_f32_u32_e32 v20, s57
	s_sub_u32 s5, 0, s56
	s_subb_u32 s58, 0, s57
	v_mac_f32_e32 v3, 0x4f800000, v20
	v_rcp_f32_e32 v3, v3
	v_mul_f32_e32 v3, 0x5f7ffffc, v3
	v_mul_f32_e32 v20, 0x2f800000, v3
	v_trunc_f32_e32 v20, v20
	v_mac_f32_e32 v3, 0xcf800000, v20
	v_cvt_u32_f32_e32 v20, v20
	v_cvt_u32_f32_e32 v3, v3
	v_readfirstlane_b32 s59, v20
	v_readfirstlane_b32 s0, v3
	s_mul_i32 s1, s5, s59
	s_mul_hi_u32 s61, s5, s0
	s_mul_i32 s60, s58, s0
	s_add_i32 s1, s61, s1
	s_add_i32 s1, s1, s60
	s_mul_i32 s62, s5, s0
	s_mul_i32 s61, s0, s1
	s_mul_hi_u32 s63, s0, s62
	s_mul_hi_u32 s60, s0, s1
	s_add_u32 s61, s63, s61
	s_addc_u32 s60, 0, s60
	s_mul_hi_u32 s64, s59, s62
	s_mul_i32 s62, s59, s62
	s_add_u32 s61, s61, s62
	s_mul_hi_u32 s63, s59, s1
	s_addc_u32 s60, s60, s64
	s_addc_u32 s61, s63, 0
	s_mul_i32 s1, s59, s1
	s_add_u32 s1, s60, s1
	s_addc_u32 s60, 0, s61
	s_add_u32 s61, s0, s1
	s_cselect_b64 s[0:1], -1, 0
	s_cmp_lg_u64 s[0:1], 0
	s_addc_u32 s59, s59, s60
	s_mul_i32 s0, s5, s59
	s_mul_hi_u32 s1, s5, s61
	s_add_i32 s0, s1, s0
	s_mul_i32 s58, s58, s61
	s_add_i32 s0, s0, s58
	s_mul_i32 s5, s5, s61
	s_mul_hi_u32 s58, s59, s5
	s_mul_i32 s60, s59, s5
	s_mul_i32 s63, s61, s0
	s_mul_hi_u32 s5, s61, s5
	s_mul_hi_u32 s62, s61, s0
	s_add_u32 s5, s5, s63
	s_addc_u32 s62, 0, s62
	s_add_u32 s5, s5, s60
	s_mul_hi_u32 s1, s59, s0
	s_addc_u32 s5, s62, s58
	s_addc_u32 s1, s1, 0
	s_mul_i32 s0, s59, s0
	s_add_u32 s0, s5, s0
	s_addc_u32 s5, 0, s1
	s_add_u32 s58, s61, s0
	s_cselect_b64 s[0:1], -1, 0
	v_ashrrev_i32_e32 v3, 31, v13
	s_cmp_lg_u64 s[0:1], 0
	v_add_co_u32_e32 v20, vcc, v12, v3
	s_addc_u32 s5, s59, s5
	v_xor_b32_e32 v26, v20, v3
	v_mad_u64_u32 v[20:21], s[0:1], v26, s5, 0
	v_mul_hi_u32 v25, v26, s58
	v_addc_co_u32_e32 v24, vcc, v13, v3, vcc
	v_xor_b32_e32 v27, v24, v3
	v_add_co_u32_e32 v28, vcc, v25, v20
	v_addc_co_u32_e32 v29, vcc, 0, v21, vcc
	v_mad_u64_u32 v[20:21], s[0:1], v27, s58, 0
	v_mad_u64_u32 v[24:25], s[0:1], v27, s5, 0
	v_add_co_u32_e32 v20, vcc, v28, v20
	v_addc_co_u32_e32 v20, vcc, v29, v21, vcc
	v_addc_co_u32_e32 v21, vcc, 0, v25, vcc
	v_add_co_u32_e32 v24, vcc, v20, v24
	v_addc_co_u32_e32 v25, vcc, 0, v21, vcc
	v_mul_lo_u32 v28, s57, v24
	v_mul_lo_u32 v29, s56, v25
	v_mad_u64_u32 v[20:21], s[0:1], s56, v24, 0
	v_xor_b32_e32 v3, s4, v3
	v_add3_u32 v21, v21, v29, v28
	v_sub_u32_e32 v28, v27, v21
	v_mov_b32_e32 v29, s57
	v_sub_co_u32_e32 v20, vcc, v26, v20
	v_subb_co_u32_e64 v26, s[0:1], v28, v29, vcc
	v_subrev_co_u32_e64 v28, s[0:1], s56, v20
	v_subbrev_co_u32_e64 v26, s[0:1], 0, v26, s[0:1]
	v_cmp_le_u32_e64 s[0:1], s57, v26
	v_cndmask_b32_e64 v29, 0, -1, s[0:1]
	v_cmp_le_u32_e64 s[0:1], s56, v28
	v_cndmask_b32_e64 v28, 0, -1, s[0:1]
	v_cmp_eq_u32_e64 s[0:1], s57, v26
	v_cndmask_b32_e64 v26, v29, v28, s[0:1]
	v_add_co_u32_e64 v28, s[0:1], 2, v24
	v_subb_co_u32_e32 v21, vcc, v27, v21, vcc
	v_addc_co_u32_e64 v29, s[0:1], 0, v25, s[0:1]
	v_cmp_le_u32_e32 vcc, s57, v21
	v_add_co_u32_e64 v30, s[0:1], 1, v24
	v_cndmask_b32_e64 v27, 0, -1, vcc
	v_cmp_le_u32_e32 vcc, s56, v20
	v_addc_co_u32_e64 v31, s[0:1], 0, v25, s[0:1]
	v_cndmask_b32_e64 v20, 0, -1, vcc
	v_cmp_eq_u32_e32 vcc, s57, v21
	v_cmp_ne_u32_e64 s[0:1], 0, v26
	v_cndmask_b32_e32 v20, v27, v20, vcc
	v_cndmask_b32_e64 v26, v31, v29, s[0:1]
	v_cmp_ne_u32_e32 vcc, 0, v20
	v_cndmask_b32_e64 v21, v30, v28, s[0:1]
	v_cndmask_b32_e32 v20, v25, v26, vcc
	v_cndmask_b32_e32 v21, v24, v21, vcc
	v_xor_b32_e32 v24, v20, v3
	v_xor_b32_e32 v20, v21, v3
	v_sub_co_u32_e32 v20, vcc, v20, v3
	v_subb_co_u32_e32 v21, vcc, v24, v3, vcc
.LBB4_38:                               ;   in Loop: Header=BB4_4 Depth=1
	s_andn2_saveexec_b64 s[0:1], s[2:3]
	s_cbranch_execz .LBB4_40
; %bb.39:                               ;   in Loop: Header=BB4_4 Depth=1
	v_cvt_f32_u32_e32 v3, s40
	s_sub_i32 s2, 0, s40
	v_rcp_iflag_f32_e32 v3, v3
	v_mul_f32_e32 v3, 0x4f7ffffe, v3
	v_cvt_u32_f32_e32 v3, v3
	v_mul_lo_u32 v20, s2, v3
	v_mul_hi_u32 v20, v3, v20
	v_add_u32_e32 v3, v3, v20
	v_mul_hi_u32 v3, v12, v3
	v_mul_lo_u32 v20, v3, s40
	v_add_u32_e32 v21, 1, v3
	v_sub_u32_e32 v20, v12, v20
	v_subrev_u32_e32 v24, s40, v20
	v_cmp_le_u32_e32 vcc, s40, v20
	v_cndmask_b32_e32 v20, v20, v24, vcc
	v_cndmask_b32_e32 v3, v3, v21, vcc
	v_add_u32_e32 v21, 1, v3
	v_cmp_le_u32_e32 vcc, s40, v20
	v_cndmask_b32_e32 v20, v3, v21, vcc
	v_mov_b32_e32 v21, v2
.LBB4_40:                               ;   in Loop: Header=BB4_4 Depth=1
	s_or_b64 exec, exec, s[0:1]
	v_add_co_u32_e32 v20, vcc, 1, v20
	v_addc_co_u32_e32 v21, vcc, 0, v21, vcc
	v_cmp_gt_i64_e32 vcc, s[48:49], v[20:21]
	v_mov_b32_e32 v3, s49
	v_cndmask_b32_e32 v21, v3, v21, vcc
	v_mov_b32_e32 v3, s48
	v_cndmask_b32_e32 v20, v3, v20, vcc
	v_cmp_lt_i64_e32 vcc, v[18:19], v[20:21]
	v_mov_b32_e32 v3, 0
	s_and_saveexec_b64 s[56:57], vcc
	s_cbranch_execz .LBB4_3
; %bb.41:                               ;   in Loop: Header=BB4_4 Depth=1
	v_lshlrev_b64 v[24:25], 1, v[10:11]
	v_add_co_u32_e32 v22, vcc, 1, v22
	v_addc_co_u32_e32 v23, vcc, 0, v23, vcc
	v_mul_lo_u32 v26, v15, s20
	v_mul_lo_u32 v27, v14, s21
	v_mad_u64_u32 v[14:15], s[0:1], v14, s20, 0
	v_mul_lo_u32 v28, s12, v5
	v_mul_lo_u32 v29, s13, v4
	v_mad_u64_u32 v[24:25], s[0:1], s12, v4, v[24:25]
	v_cmp_gt_i64_e32 vcc, s[50:51], v[22:23]
	v_mov_b32_e32 v3, s51
	v_cndmask_b32_e32 v23, v3, v23, vcc
	v_mov_b32_e32 v3, s50
	v_cndmask_b32_e32 v22, v3, v22, vcc
	v_add3_u32 v15, v15, v27, v26
	v_add3_u32 v3, v29, v25, v28
	v_mov_b32_e32 v25, s11
	v_add_co_u32_e32 v24, vcc, s10, v24
	v_mul_lo_u32 v28, s43, v10
	v_mul_lo_u32 v29, s42, v11
	v_mad_u64_u32 v[26:27], s[2:3], s42, v10, 0
	v_addc_co_u32_e32 v25, vcc, v25, v3, vcc
	v_mov_b32_e32 v3, s39
	v_add_co_u32_e32 v30, vcc, s38, v0
	v_addc_co_u32_e32 v3, vcc, v3, v1, vcc
	v_add3_u32 v27, v27, v29, v28
	v_sub_co_u32_e32 v26, vcc, v30, v26
	v_subb_co_u32_e32 v3, vcc, v3, v27, vcc
	v_sub_co_u32_e32 v16, vcc, v26, v16
	v_subb_co_u32_e32 v3, vcc, v3, v17, vcc
	v_cmp_lt_i64_e64 s[0:1], v[10:11], v[22:23]
	v_sub_co_u32_e32 v8, vcc, v16, v8
	v_subb_co_u32_e32 v9, vcc, v3, v9, vcc
	v_mov_b32_e32 v34, 0
	s_mov_b64 s[58:59], 0
	s_branch .LBB4_44
.LBB4_42:                               ;   in Loop: Header=BB4_44 Depth=2
	s_or_b64 exec, exec, s[62:63]
.LBB4_43:                               ;   in Loop: Header=BB4_44 Depth=2
	s_or_b64 exec, exec, s[60:61]
	v_add_co_u32_e32 v18, vcc, 1, v18
	v_addc_co_u32_e32 v19, vcc, 0, v19, vcc
	v_cmp_ge_i64_e32 vcc, v[18:19], v[20:21]
	s_or_b64 s[58:59], vcc, s[58:59]
	s_andn2_b64 exec, exec, s[58:59]
	s_cbranch_execz .LBB4_2
.LBB4_44:                               ;   Parent Loop BB4_4 Depth=1
                                        ; =>  This Loop Header: Depth=2
                                        ;       Child Loop BB4_52 Depth 3
	s_and_saveexec_b64 s[60:61], s[0:1]
	s_cbranch_execz .LBB4_43
; %bb.45:                               ;   in Loop: Header=BB4_44 Depth=2
	v_mul_lo_u32 v3, v19, s40
	v_mul_lo_u32 v26, v18, s41
	v_mad_u64_u32 v[16:17], s[2:3], v18, s40, 0
	v_add3_u32 v3, v17, v26, v3
	v_sub_co_u32_e32 v26, vcc, v12, v16
	v_subb_co_u32_e32 v27, vcc, v13, v3, vcc
	v_or_b32_e32 v3, s45, v27
	v_cmp_ne_u64_e32 vcc, 0, v[2:3]
                                        ; implicit-def: $vgpr16_vgpr17
	s_and_saveexec_b64 s[2:3], vcc
	s_xor_b64 s[4:5], exec, s[2:3]
	s_cbranch_execz .LBB4_47
; %bb.46:                               ;   in Loop: Header=BB4_44 Depth=2
	s_ashr_i32 s62, s45, 31
	s_add_u32 s2, s44, s62
	s_mov_b32 s63, s62
	s_addc_u32 s3, s45, s62
	s_xor_b64 s[64:65], s[2:3], s[62:63]
	v_cvt_f32_u32_e32 v3, s64
	v_cvt_f32_u32_e32 v16, s65
	s_sub_u32 s63, 0, s64
	s_subb_u32 s66, 0, s65
	v_mac_f32_e32 v3, 0x4f800000, v16
	v_rcp_f32_e32 v3, v3
	v_mul_f32_e32 v3, 0x5f7ffffc, v3
	v_mul_f32_e32 v16, 0x2f800000, v3
	v_trunc_f32_e32 v16, v16
	v_mac_f32_e32 v3, 0xcf800000, v16
	v_cvt_u32_f32_e32 v16, v16
	v_cvt_u32_f32_e32 v3, v3
	v_readfirstlane_b32 s67, v16
	v_readfirstlane_b32 s2, v3
	s_mul_i32 s3, s63, s67
	s_mul_hi_u32 s69, s63, s2
	s_mul_i32 s68, s66, s2
	s_add_i32 s3, s69, s3
	s_add_i32 s3, s3, s68
	s_mul_i32 s70, s63, s2
	s_mul_i32 s69, s2, s3
	s_mul_hi_u32 s71, s2, s70
	s_mul_hi_u32 s68, s2, s3
	s_add_u32 s69, s71, s69
	s_addc_u32 s68, 0, s68
	s_mul_hi_u32 s74, s67, s70
	s_mul_i32 s70, s67, s70
	s_add_u32 s69, s69, s70
	s_mul_hi_u32 s71, s67, s3
	s_addc_u32 s68, s68, s74
	s_addc_u32 s69, s71, 0
	s_mul_i32 s3, s67, s3
	s_add_u32 s3, s68, s3
	s_addc_u32 s68, 0, s69
	s_add_u32 s69, s2, s3
	s_cselect_b64 s[2:3], -1, 0
	s_cmp_lg_u64 s[2:3], 0
	s_addc_u32 s67, s67, s68
	s_mul_i32 s2, s63, s67
	s_mul_hi_u32 s3, s63, s69
	s_add_i32 s2, s3, s2
	s_mul_i32 s66, s66, s69
	s_add_i32 s2, s2, s66
	s_mul_i32 s63, s63, s69
	s_mul_hi_u32 s66, s67, s63
	s_mul_i32 s68, s67, s63
	s_mul_i32 s71, s69, s2
	s_mul_hi_u32 s63, s69, s63
	s_mul_hi_u32 s70, s69, s2
	s_add_u32 s63, s63, s71
	s_addc_u32 s70, 0, s70
	s_add_u32 s63, s63, s68
	s_mul_hi_u32 s3, s67, s2
	s_addc_u32 s63, s70, s66
	s_addc_u32 s3, s3, 0
	s_mul_i32 s2, s67, s2
	s_add_u32 s2, s63, s2
	s_addc_u32 s63, 0, s3
	s_add_u32 s66, s69, s2
	s_cselect_b64 s[2:3], -1, 0
	v_ashrrev_i32_e32 v3, 31, v27
	s_cmp_lg_u64 s[2:3], 0
	v_add_co_u32_e32 v16, vcc, v26, v3
	s_addc_u32 s63, s67, s63
	v_xor_b32_e32 v30, v16, v3
	v_mad_u64_u32 v[16:17], s[2:3], v30, s63, 0
	v_mul_hi_u32 v29, v30, s66
	v_addc_co_u32_e32 v28, vcc, v27, v3, vcc
	v_xor_b32_e32 v31, v28, v3
	v_add_co_u32_e32 v32, vcc, v29, v16
	v_addc_co_u32_e32 v33, vcc, 0, v17, vcc
	v_mad_u64_u32 v[16:17], s[2:3], v31, s66, 0
	v_mad_u64_u32 v[28:29], s[2:3], v31, s63, 0
	v_add_co_u32_e32 v16, vcc, v32, v16
	v_addc_co_u32_e32 v16, vcc, v33, v17, vcc
	v_addc_co_u32_e32 v17, vcc, 0, v29, vcc
	v_add_co_u32_e32 v28, vcc, v16, v28
	v_addc_co_u32_e32 v29, vcc, 0, v17, vcc
	v_mul_lo_u32 v32, s65, v28
	v_mul_lo_u32 v33, s64, v29
	v_mad_u64_u32 v[16:17], s[2:3], s64, v28, 0
	v_xor_b32_e32 v3, s62, v3
	v_add3_u32 v17, v17, v33, v32
	v_sub_u32_e32 v32, v31, v17
	v_mov_b32_e32 v33, s65
	v_sub_co_u32_e32 v16, vcc, v30, v16
	v_subb_co_u32_e64 v30, s[2:3], v32, v33, vcc
	v_subrev_co_u32_e64 v32, s[2:3], s64, v16
	v_subbrev_co_u32_e64 v30, s[2:3], 0, v30, s[2:3]
	v_cmp_le_u32_e64 s[2:3], s65, v30
	v_cndmask_b32_e64 v33, 0, -1, s[2:3]
	v_cmp_le_u32_e64 s[2:3], s64, v32
	v_cndmask_b32_e64 v32, 0, -1, s[2:3]
	v_cmp_eq_u32_e64 s[2:3], s65, v30
	v_cndmask_b32_e64 v30, v33, v32, s[2:3]
	v_add_co_u32_e64 v32, s[2:3], 2, v28
	v_subb_co_u32_e32 v17, vcc, v31, v17, vcc
	v_addc_co_u32_e64 v33, s[2:3], 0, v29, s[2:3]
	v_cmp_le_u32_e32 vcc, s65, v17
	v_add_co_u32_e64 v35, s[2:3], 1, v28
	v_cndmask_b32_e64 v31, 0, -1, vcc
	v_cmp_le_u32_e32 vcc, s64, v16
	v_addc_co_u32_e64 v36, s[2:3], 0, v29, s[2:3]
	v_cndmask_b32_e64 v16, 0, -1, vcc
	v_cmp_eq_u32_e32 vcc, s65, v17
	v_cmp_ne_u32_e64 s[2:3], 0, v30
	v_cndmask_b32_e32 v16, v31, v16, vcc
	v_cndmask_b32_e64 v30, v36, v33, s[2:3]
	v_cmp_ne_u32_e32 vcc, 0, v16
	v_cndmask_b32_e64 v17, v35, v32, s[2:3]
	v_cndmask_b32_e32 v16, v29, v30, vcc
	v_cndmask_b32_e32 v17, v28, v17, vcc
	v_xor_b32_e32 v28, v16, v3
	v_xor_b32_e32 v16, v17, v3
	v_sub_co_u32_e32 v16, vcc, v16, v3
	v_subb_co_u32_e32 v17, vcc, v28, v3, vcc
.LBB4_47:                               ;   in Loop: Header=BB4_44 Depth=2
	s_andn2_saveexec_b64 s[2:3], s[4:5]
	s_cbranch_execz .LBB4_49
; %bb.48:                               ;   in Loop: Header=BB4_44 Depth=2
	v_cvt_f32_u32_e32 v3, s44
	s_sub_i32 s4, 0, s44
	v_rcp_iflag_f32_e32 v3, v3
	v_mul_f32_e32 v3, 0x4f7ffffe, v3
	v_cvt_u32_f32_e32 v3, v3
	v_mul_lo_u32 v16, s4, v3
	v_mul_hi_u32 v16, v3, v16
	v_add_u32_e32 v3, v3, v16
	v_mul_hi_u32 v3, v26, v3
	v_mul_lo_u32 v16, v3, s44
	v_add_u32_e32 v17, 1, v3
	v_sub_u32_e32 v16, v26, v16
	v_subrev_u32_e32 v28, s44, v16
	v_cmp_le_u32_e32 vcc, s44, v16
	v_cndmask_b32_e32 v16, v16, v28, vcc
	v_cndmask_b32_e32 v3, v3, v17, vcc
	v_add_u32_e32 v17, 1, v3
	v_cmp_le_u32_e32 vcc, s44, v16
	v_cndmask_b32_e32 v16, v3, v17, vcc
	v_mov_b32_e32 v17, v2
.LBB4_49:                               ;   in Loop: Header=BB4_44 Depth=2
	s_or_b64 exec, exec, s[2:3]
	v_mul_lo_u32 v3, v17, s44
	v_mul_lo_u32 v30, v16, s45
	v_mad_u64_u32 v[28:29], s[2:3], v16, s44, 0
	v_add_co_u32_e32 v16, vcc, v16, v14
	v_addc_co_u32_e32 v17, vcc, v17, v15, vcc
	v_add3_u32 v3, v29, v30, v3
	v_mul_lo_u32 v29, v17, s22
	v_mul_lo_u32 v30, v16, s23
	v_mad_u64_u32 v[16:17], s[2:3], v16, s22, 0
	v_sub_co_u32_e32 v26, vcc, v26, v28
	v_subb_co_u32_e32 v27, vcc, v27, v3, vcc
	v_cmp_eq_u64_e64 s[2:3], 0, v[26:27]
	v_add3_u32 v17, v17, v30, v29
	v_mov_b32_e32 v27, v9
	v_mov_b32_e32 v29, v25
	;; [unrolled: 1-line block ×3, first 2 shown]
	s_mov_b64 s[62:63], 0
	v_mov_b32_e32 v26, v8
	v_mov_b32_e32 v28, v24
	;; [unrolled: 1-line block ×3, first 2 shown]
	s_branch .LBB4_52
.LBB4_50:                               ;   in Loop: Header=BB4_52 Depth=3
	s_or_b64 exec, exec, s[4:5]
.LBB4_51:                               ;   in Loop: Header=BB4_52 Depth=3
	s_or_b64 exec, exec, s[64:65]
	v_add_co_u32_e32 v30, vcc, 1, v30
	v_addc_co_u32_e32 v31, vcc, 0, v31, vcc
	v_add_co_u32_e32 v28, vcc, 2, v28
	v_addc_co_u32_e32 v29, vcc, 0, v29, vcc
	v_cmp_ge_i64_e32 vcc, v[30:31], v[22:23]
	v_mov_b32_e32 v3, s43
	s_or_b64 s[62:63], vcc, s[62:63]
	v_subrev_co_u32_e32 v26, vcc, s42, v26
	v_subb_co_u32_e32 v27, vcc, v27, v3, vcc
	s_andn2_b64 exec, exec, s[62:63]
	s_cbranch_execz .LBB4_42
.LBB4_52:                               ;   Parent Loop BB4_4 Depth=1
                                        ;     Parent Loop BB4_44 Depth=2
                                        ; =>    This Inner Loop Header: Depth=3
	s_and_saveexec_b64 s[64:65], s[2:3]
	s_cbranch_execz .LBB4_51
; %bb.53:                               ;   in Loop: Header=BB4_52 Depth=3
	v_or_b32_e32 v3, s47, v27
	v_cmp_ne_u64_e32 vcc, 0, v[2:3]
                                        ; implicit-def: $vgpr32_vgpr33
	s_and_saveexec_b64 s[4:5], vcc
	s_xor_b64 s[66:67], exec, s[4:5]
	s_cbranch_execz .LBB4_55
; %bb.54:                               ;   in Loop: Header=BB4_52 Depth=3
	s_ashr_i32 s68, s47, 31
	s_add_u32 s4, s46, s68
	s_mov_b32 s69, s68
	s_addc_u32 s5, s47, s68
	s_xor_b64 s[70:71], s[4:5], s[68:69]
	v_cvt_f32_u32_e32 v3, s70
	v_cvt_f32_u32_e32 v32, s71
	s_sub_u32 s69, 0, s70
	s_subb_u32 s74, 0, s71
	v_mac_f32_e32 v3, 0x4f800000, v32
	v_rcp_f32_e32 v3, v3
	v_mul_f32_e32 v3, 0x5f7ffffc, v3
	v_mul_f32_e32 v32, 0x2f800000, v3
	v_trunc_f32_e32 v32, v32
	v_mac_f32_e32 v3, 0xcf800000, v32
	v_cvt_u32_f32_e32 v32, v32
	v_cvt_u32_f32_e32 v3, v3
	v_readfirstlane_b32 s75, v32
	v_readfirstlane_b32 s4, v3
	s_mul_i32 s5, s69, s75
	s_mul_hi_u32 s77, s69, s4
	s_mul_i32 s76, s74, s4
	s_add_i32 s5, s77, s5
	s_add_i32 s5, s5, s76
	s_mul_i32 s78, s69, s4
	s_mul_i32 s77, s4, s5
	s_mul_hi_u32 s79, s4, s78
	s_mul_hi_u32 s76, s4, s5
	s_add_u32 s77, s79, s77
	s_addc_u32 s76, 0, s76
	s_mul_hi_u32 s80, s75, s78
	s_mul_i32 s78, s75, s78
	s_add_u32 s77, s77, s78
	s_mul_hi_u32 s79, s75, s5
	s_addc_u32 s76, s76, s80
	s_addc_u32 s77, s79, 0
	s_mul_i32 s5, s75, s5
	s_add_u32 s5, s76, s5
	s_addc_u32 s76, 0, s77
	s_add_u32 s77, s4, s5
	s_cselect_b64 s[4:5], -1, 0
	s_cmp_lg_u64 s[4:5], 0
	s_addc_u32 s75, s75, s76
	s_mul_i32 s4, s69, s75
	s_mul_hi_u32 s5, s69, s77
	s_add_i32 s4, s5, s4
	s_mul_i32 s74, s74, s77
	s_add_i32 s4, s4, s74
	s_mul_i32 s69, s69, s77
	s_mul_hi_u32 s74, s75, s69
	s_mul_i32 s76, s75, s69
	s_mul_i32 s79, s77, s4
	s_mul_hi_u32 s69, s77, s69
	s_mul_hi_u32 s78, s77, s4
	s_add_u32 s69, s69, s79
	s_addc_u32 s78, 0, s78
	s_add_u32 s69, s69, s76
	s_mul_hi_u32 s5, s75, s4
	s_addc_u32 s69, s78, s74
	s_addc_u32 s5, s5, 0
	s_mul_i32 s4, s75, s4
	s_add_u32 s4, s69, s4
	s_addc_u32 s69, 0, s5
	s_add_u32 s74, s77, s4
	s_cselect_b64 s[4:5], -1, 0
	v_ashrrev_i32_e32 v3, 31, v27
	s_cmp_lg_u64 s[4:5], 0
	v_add_co_u32_e32 v32, vcc, v26, v3
	s_addc_u32 s69, s75, s69
	v_xor_b32_e32 v37, v32, v3
	v_mad_u64_u32 v[32:33], s[4:5], v37, s69, 0
	v_mul_hi_u32 v36, v37, s74
	v_addc_co_u32_e32 v35, vcc, v27, v3, vcc
	v_xor_b32_e32 v38, v35, v3
	v_add_co_u32_e32 v39, vcc, v36, v32
	v_addc_co_u32_e32 v40, vcc, 0, v33, vcc
	v_mad_u64_u32 v[32:33], s[4:5], v38, s74, 0
	v_mad_u64_u32 v[35:36], s[4:5], v38, s69, 0
	v_add_co_u32_e32 v32, vcc, v39, v32
	v_addc_co_u32_e32 v32, vcc, v40, v33, vcc
	v_addc_co_u32_e32 v33, vcc, 0, v36, vcc
	v_add_co_u32_e32 v35, vcc, v32, v35
	v_addc_co_u32_e32 v36, vcc, 0, v33, vcc
	v_mul_lo_u32 v39, s71, v35
	v_mul_lo_u32 v40, s70, v36
	v_mad_u64_u32 v[32:33], s[4:5], s70, v35, 0
	v_xor_b32_e32 v3, s68, v3
	v_add3_u32 v33, v33, v40, v39
	v_sub_u32_e32 v39, v38, v33
	v_mov_b32_e32 v40, s71
	v_sub_co_u32_e32 v32, vcc, v37, v32
	v_subb_co_u32_e64 v37, s[4:5], v39, v40, vcc
	v_subrev_co_u32_e64 v39, s[4:5], s70, v32
	v_subbrev_co_u32_e64 v37, s[4:5], 0, v37, s[4:5]
	v_cmp_le_u32_e64 s[4:5], s71, v37
	v_cndmask_b32_e64 v40, 0, -1, s[4:5]
	v_cmp_le_u32_e64 s[4:5], s70, v39
	v_cndmask_b32_e64 v39, 0, -1, s[4:5]
	v_cmp_eq_u32_e64 s[4:5], s71, v37
	v_cndmask_b32_e64 v37, v40, v39, s[4:5]
	v_add_co_u32_e64 v39, s[4:5], 2, v35
	v_subb_co_u32_e32 v33, vcc, v38, v33, vcc
	v_addc_co_u32_e64 v40, s[4:5], 0, v36, s[4:5]
	v_cmp_le_u32_e32 vcc, s71, v33
	v_add_co_u32_e64 v41, s[4:5], 1, v35
	v_cndmask_b32_e64 v38, 0, -1, vcc
	v_cmp_le_u32_e32 vcc, s70, v32
	v_addc_co_u32_e64 v42, s[4:5], 0, v36, s[4:5]
	v_cndmask_b32_e64 v32, 0, -1, vcc
	v_cmp_eq_u32_e32 vcc, s71, v33
	v_cmp_ne_u32_e64 s[4:5], 0, v37
	v_cndmask_b32_e32 v32, v38, v32, vcc
	v_cndmask_b32_e64 v37, v42, v40, s[4:5]
	v_cmp_ne_u32_e32 vcc, 0, v32
	v_cndmask_b32_e64 v33, v41, v39, s[4:5]
	v_cndmask_b32_e32 v32, v36, v37, vcc
	v_cndmask_b32_e32 v33, v35, v33, vcc
	v_xor_b32_e32 v35, v32, v3
	v_xor_b32_e32 v32, v33, v3
	v_sub_co_u32_e32 v32, vcc, v32, v3
	v_subb_co_u32_e32 v33, vcc, v35, v3, vcc
.LBB4_55:                               ;   in Loop: Header=BB4_52 Depth=3
	s_andn2_saveexec_b64 s[4:5], s[66:67]
	s_cbranch_execz .LBB4_57
; %bb.56:                               ;   in Loop: Header=BB4_52 Depth=3
	v_cvt_f32_u32_e32 v3, s46
	s_sub_i32 s66, 0, s46
	v_rcp_iflag_f32_e32 v3, v3
	v_mul_f32_e32 v3, 0x4f7ffffe, v3
	v_cvt_u32_f32_e32 v3, v3
	v_mul_lo_u32 v32, s66, v3
	v_mul_hi_u32 v32, v3, v32
	v_add_u32_e32 v3, v3, v32
	v_mul_hi_u32 v3, v26, v3
	v_mul_lo_u32 v32, v3, s46
	v_add_u32_e32 v33, 1, v3
	v_sub_u32_e32 v32, v26, v32
	v_subrev_u32_e32 v35, s46, v32
	v_cmp_le_u32_e32 vcc, s46, v32
	v_cndmask_b32_e32 v32, v32, v35, vcc
	v_cndmask_b32_e32 v3, v3, v33, vcc
	v_add_u32_e32 v33, 1, v3
	v_cmp_le_u32_e32 vcc, s46, v32
	v_cndmask_b32_e32 v32, v3, v33, vcc
	v_mov_b32_e32 v33, v2
.LBB4_57:                               ;   in Loop: Header=BB4_52 Depth=3
	s_or_b64 exec, exec, s[4:5]
	v_mul_lo_u32 v3, v33, s46
	v_mul_lo_u32 v37, v32, s47
	v_mad_u64_u32 v[35:36], s[4:5], v32, s46, 0
	v_add3_u32 v3, v36, v37, v3
	v_sub_co_u32_e32 v35, vcc, v26, v35
	v_subb_co_u32_e32 v36, vcc, v27, v3, vcc
	v_cmp_eq_u64_e32 vcc, 0, v[35:36]
	s_and_saveexec_b64 s[4:5], vcc
	s_cbranch_execz .LBB4_50
; %bb.58:                               ;   in Loop: Header=BB4_52 Depth=3
	v_add_co_u32_e32 v3, vcc, v16, v32
	v_addc_co_u32_e32 v32, vcc, v17, v33, vcc
	v_mul_lo_u32 v35, v3, s49
	v_mul_lo_u32 v36, v32, s48
	v_mad_u64_u32 v[32:33], s[66:67], v3, s48, v[18:19]
	v_add3_u32 v3, v36, v33, v35
	v_mul_lo_u32 v3, s52, v3
	v_mul_lo_u32 v35, s53, v32
	v_mad_u64_u32 v[32:33], s[66:67], s52, v32, v[28:29]
	v_add3_u32 v33, v35, v33, v3
	global_load_ushort v3, v[32:33], off
	s_waitcnt vmcnt(0)
	v_cvt_f32_f16_e32 v3, v3
	v_add_f32_e32 v34, v34, v3
	s_branch .LBB4_50
.LBB4_59:
	s_endpgm
	.section	.rodata,"a",@progbits
	.p2align	6, 0x0
	.amdhsa_kernel _ZN2at6native21col2im_batched_kernelIN3c104HalfEEEvlPKT_llllllllllllllPS4_l
		.amdhsa_group_segment_fixed_size 0
		.amdhsa_private_segment_fixed_size 0
		.amdhsa_kernarg_size 400
		.amdhsa_user_sgpr_count 6
		.amdhsa_user_sgpr_private_segment_buffer 1
		.amdhsa_user_sgpr_dispatch_ptr 0
		.amdhsa_user_sgpr_queue_ptr 0
		.amdhsa_user_sgpr_kernarg_segment_ptr 1
		.amdhsa_user_sgpr_dispatch_id 0
		.amdhsa_user_sgpr_flat_scratch_init 0
		.amdhsa_user_sgpr_private_segment_size 0
		.amdhsa_uses_dynamic_stack 0
		.amdhsa_system_sgpr_private_segment_wavefront_offset 0
		.amdhsa_system_sgpr_workgroup_id_x 1
		.amdhsa_system_sgpr_workgroup_id_y 0
		.amdhsa_system_sgpr_workgroup_id_z 0
		.amdhsa_system_sgpr_workgroup_info 0
		.amdhsa_system_vgpr_workitem_id 0
		.amdhsa_next_free_vgpr 43
		.amdhsa_next_free_sgpr 81
		.amdhsa_reserve_vcc 1
		.amdhsa_reserve_flat_scratch 0
		.amdhsa_float_round_mode_32 0
		.amdhsa_float_round_mode_16_64 0
		.amdhsa_float_denorm_mode_32 3
		.amdhsa_float_denorm_mode_16_64 3
		.amdhsa_dx10_clamp 1
		.amdhsa_ieee_mode 1
		.amdhsa_fp16_overflow 0
		.amdhsa_exception_fp_ieee_invalid_op 0
		.amdhsa_exception_fp_denorm_src 0
		.amdhsa_exception_fp_ieee_div_zero 0
		.amdhsa_exception_fp_ieee_overflow 0
		.amdhsa_exception_fp_ieee_underflow 0
		.amdhsa_exception_fp_ieee_inexact 0
		.amdhsa_exception_int_div_zero 0
	.end_amdhsa_kernel
	.section	.text._ZN2at6native21col2im_batched_kernelIN3c104HalfEEEvlPKT_llllllllllllllPS4_l,"axG",@progbits,_ZN2at6native21col2im_batched_kernelIN3c104HalfEEEvlPKT_llllllllllllllPS4_l,comdat
.Lfunc_end4:
	.size	_ZN2at6native21col2im_batched_kernelIN3c104HalfEEEvlPKT_llllllllllllllPS4_l, .Lfunc_end4-_ZN2at6native21col2im_batched_kernelIN3c104HalfEEEvlPKT_llllllllllllllPS4_l
                                        ; -- End function
	.set _ZN2at6native21col2im_batched_kernelIN3c104HalfEEEvlPKT_llllllllllllllPS4_l.num_vgpr, 43
	.set _ZN2at6native21col2im_batched_kernelIN3c104HalfEEEvlPKT_llllllllllllllPS4_l.num_agpr, 0
	.set _ZN2at6native21col2im_batched_kernelIN3c104HalfEEEvlPKT_llllllllllllllPS4_l.numbered_sgpr, 81
	.set _ZN2at6native21col2im_batched_kernelIN3c104HalfEEEvlPKT_llllllllllllllPS4_l.num_named_barrier, 0
	.set _ZN2at6native21col2im_batched_kernelIN3c104HalfEEEvlPKT_llllllllllllllPS4_l.private_seg_size, 0
	.set _ZN2at6native21col2im_batched_kernelIN3c104HalfEEEvlPKT_llllllllllllllPS4_l.uses_vcc, 1
	.set _ZN2at6native21col2im_batched_kernelIN3c104HalfEEEvlPKT_llllllllllllllPS4_l.uses_flat_scratch, 0
	.set _ZN2at6native21col2im_batched_kernelIN3c104HalfEEEvlPKT_llllllllllllllPS4_l.has_dyn_sized_stack, 0
	.set _ZN2at6native21col2im_batched_kernelIN3c104HalfEEEvlPKT_llllllllllllllPS4_l.has_recursion, 0
	.set _ZN2at6native21col2im_batched_kernelIN3c104HalfEEEvlPKT_llllllllllllllPS4_l.has_indirect_call, 0
	.section	.AMDGPU.csdata,"",@progbits
; Kernel info:
; codeLenInByte = 8544
; TotalNumSgprs: 85
; NumVgprs: 43
; ScratchSize: 0
; MemoryBound: 0
; FloatMode: 240
; IeeeMode: 1
; LDSByteSize: 0 bytes/workgroup (compile time only)
; SGPRBlocks: 10
; VGPRBlocks: 10
; NumSGPRsForWavesPerEU: 85
; NumVGPRsForWavesPerEU: 43
; Occupancy: 5
; WaveLimiterHint : 0
; COMPUTE_PGM_RSRC2:SCRATCH_EN: 0
; COMPUTE_PGM_RSRC2:USER_SGPR: 6
; COMPUTE_PGM_RSRC2:TRAP_HANDLER: 0
; COMPUTE_PGM_RSRC2:TGID_X_EN: 1
; COMPUTE_PGM_RSRC2:TGID_Y_EN: 0
; COMPUTE_PGM_RSRC2:TGID_Z_EN: 0
; COMPUTE_PGM_RSRC2:TIDIG_COMP_CNT: 0
	.section	.text._ZN2at6native21col2im_batched_kernelIN3c108BFloat16EEEvlPKT_llllllllllllllPS4_l,"axG",@progbits,_ZN2at6native21col2im_batched_kernelIN3c108BFloat16EEEvlPKT_llllllllllllllPS4_l,comdat
	.protected	_ZN2at6native21col2im_batched_kernelIN3c108BFloat16EEEvlPKT_llllllllllllllPS4_l ; -- Begin function _ZN2at6native21col2im_batched_kernelIN3c108BFloat16EEEvlPKT_llllllllllllllPS4_l
	.globl	_ZN2at6native21col2im_batched_kernelIN3c108BFloat16EEEvlPKT_llllllllllllllPS4_l
	.p2align	8
	.type	_ZN2at6native21col2im_batched_kernelIN3c108BFloat16EEEvlPKT_llllllllllllllPS4_l,@function
_ZN2at6native21col2im_batched_kernelIN3c108BFloat16EEEvlPKT_llllllllllllllPS4_l: ; @_ZN2at6native21col2im_batched_kernelIN3c108BFloat16EEEvlPKT_llllllllllllllPS4_l
; %bb.0:
	s_load_dwordx16 s[8:23], s[4:5], 0x0
	s_load_dword s2, s[4:5], 0x9c
	v_mov_b32_e32 v2, 0
	v_mov_b32_e32 v1, v2
	;; [unrolled: 1-line block ×3, first 2 shown]
	s_waitcnt lgkmcnt(0)
	s_mul_i32 s0, s14, s9
	s_mul_hi_u32 s1, s14, s8
	s_add_i32 s0, s1, s0
	s_mul_i32 s1, s15, s8
	s_add_i32 s7, s0, s1
	s_add_u32 s0, s4, 0x90
	s_addc_u32 s1, s5, 0
	s_and_b32 s2, s2, 0xffff
	v_mad_u64_u32 v[0:1], s[24:25], s2, v3, v[0:1]
	s_mul_i32 s6, s14, s8
	v_cmp_gt_i64_e32 vcc, s[6:7], v[0:1]
	s_and_saveexec_b64 s[14:15], vcc
	s_cbranch_execz .LBB5_59
; %bb.1:
	s_load_dwordx16 s[36:51], s[4:5], 0x40
	s_load_dwordx4 s[24:27], s[4:5], 0x80
	s_load_dword s3, s[0:1], 0x0
	s_mul_i32 s0, s18, s17
	s_mul_hi_u32 s1, s18, s16
	s_add_i32 s0, s1, s0
	s_mul_i32 s1, s19, s16
	s_add_i32 s33, s0, s1
	s_add_u32 s0, s22, -1
	s_addc_u32 s1, s23, -1
	s_waitcnt lgkmcnt(0)
	s_mul_i32 s1, s46, s1
	s_mul_hi_u32 s4, s46, s0
	s_add_i32 s1, s4, s1
	s_mul_i32 s4, s47, s0
	s_add_i32 s15, s1, s4
	s_mul_i32 s14, s46, s0
	s_add_u32 s0, s20, -1
	s_addc_u32 s1, s21, -1
	s_mul_i32 s1, s44, s1
	s_mul_hi_u32 s4, s44, s0
	s_add_i32 s1, s4, s1
	s_mul_i32 s4, s45, s0
	s_add_i32 s29, s1, s4
	s_mul_i32 s28, s44, s0
	s_mul_i32 s72, s18, s16
	s_not_b64 s[30:31], s[28:29]
	s_not_b64 s[34:35], s[14:15]
	s_mul_i32 s73, s3, s2
	s_lshl_b64 s[52:53], s[50:51], 1
	s_lshl_b64 s[12:13], s[12:13], 1
	s_mov_b64 s[54:55], 0
	s_movk_i32 s74, 0x7fff
	v_mov_b32_e32 v34, 0x7fc0
	s_branch .LBB5_4
.LBB5_2:                                ;   in Loop: Header=BB5_4 Depth=1
	s_or_b64 exec, exec, s[58:59]
.LBB5_3:                                ;   in Loop: Header=BB5_4 Depth=1
	s_or_b64 exec, exec, s[56:57]
	v_mul_lo_u32 v5, v5, s26
	v_mul_lo_u32 v8, v4, s27
	v_mad_u64_u32 v[3:4], s[0:1], v4, s26, 0
	v_add3_u32 v4, v4, v8, v5
	v_lshlrev_b64 v[3:4], 1, v[3:4]
	v_mov_b32_e32 v5, s25
	v_add_co_u32_e32 v8, vcc, s24, v3
	v_bfe_u32 v3, v35, 16, 1
	v_addc_co_u32_e32 v5, vcc, v5, v4, vcc
	v_add3_u32 v3, v35, v3, s74
	v_lshrrev_b32_e32 v3, 16, v3
	v_cmp_o_f32_e32 vcc, v35, v35
	v_cndmask_b32_e32 v9, v34, v3, vcc
	v_add_co_u32_e32 v0, vcc, s73, v0
	v_lshlrev_b64 v[3:4], 1, v[6:7]
	v_addc_co_u32_e32 v1, vcc, 0, v1, vcc
	v_cmp_le_i64_e32 vcc, s[6:7], v[0:1]
	v_add_co_u32_e64 v3, s[0:1], v8, v3
	v_addc_co_u32_e64 v4, s[0:1], v5, v4, s[0:1]
	s_or_b64 s[54:55], vcc, s[54:55]
	global_store_short v[3:4], v9, off
	s_andn2_b64 exec, exec, s[54:55]
	s_cbranch_execz .LBB5_59
.LBB5_4:                                ; =>This Loop Header: Depth=1
                                        ;     Child Loop BB5_44 Depth 2
                                        ;       Child Loop BB5_52 Depth 3
	v_or_b32_e32 v3, s9, v1
	v_cmp_ne_u64_e32 vcc, 0, v[2:3]
                                        ; implicit-def: $vgpr4_vgpr5
	s_and_saveexec_b64 s[0:1], vcc
	s_xor_b64 s[2:3], exec, s[0:1]
	s_cbranch_execz .LBB5_6
; %bb.5:                                ;   in Loop: Header=BB5_4 Depth=1
	s_ashr_i32 s4, s9, 31
	s_add_u32 s0, s8, s4
	s_mov_b32 s5, s4
	s_addc_u32 s1, s9, s4
	s_xor_b64 s[56:57], s[0:1], s[4:5]
	v_cvt_f32_u32_e32 v3, s56
	v_cvt_f32_u32_e32 v4, s57
	s_sub_u32 s5, 0, s56
	s_subb_u32 s58, 0, s57
	v_ashrrev_i32_e32 v7, 31, v1
	v_mac_f32_e32 v3, 0x4f800000, v4
	v_rcp_f32_e32 v3, v3
	v_mul_f32_e32 v3, 0x5f7ffffc, v3
	v_mul_f32_e32 v4, 0x2f800000, v3
	v_trunc_f32_e32 v4, v4
	v_mac_f32_e32 v3, 0xcf800000, v4
	v_cvt_u32_f32_e32 v4, v4
	v_cvt_u32_f32_e32 v3, v3
	v_readfirstlane_b32 s59, v4
	v_readfirstlane_b32 s0, v3
	s_mul_i32 s1, s5, s59
	s_mul_hi_u32 s61, s5, s0
	s_mul_i32 s60, s58, s0
	s_add_i32 s1, s61, s1
	s_add_i32 s1, s1, s60
	s_mul_i32 s62, s5, s0
	s_mul_i32 s61, s0, s1
	s_mul_hi_u32 s63, s0, s62
	s_mul_hi_u32 s60, s0, s1
	s_add_u32 s61, s63, s61
	s_addc_u32 s60, 0, s60
	s_mul_hi_u32 s64, s59, s62
	s_mul_i32 s62, s59, s62
	s_add_u32 s61, s61, s62
	s_mul_hi_u32 s63, s59, s1
	s_addc_u32 s60, s60, s64
	s_addc_u32 s61, s63, 0
	s_mul_i32 s1, s59, s1
	s_add_u32 s1, s60, s1
	s_addc_u32 s60, 0, s61
	s_add_u32 s61, s0, s1
	s_cselect_b64 s[0:1], -1, 0
	s_cmp_lg_u64 s[0:1], 0
	s_addc_u32 s59, s59, s60
	s_mul_i32 s0, s5, s59
	s_mul_hi_u32 s1, s5, s61
	s_add_i32 s0, s1, s0
	s_mul_i32 s58, s58, s61
	s_add_i32 s0, s0, s58
	s_mul_i32 s5, s5, s61
	s_mul_hi_u32 s58, s59, s5
	s_mul_i32 s60, s59, s5
	s_mul_i32 s63, s61, s0
	s_mul_hi_u32 s5, s61, s5
	s_mul_hi_u32 s62, s61, s0
	s_add_u32 s5, s5, s63
	s_addc_u32 s62, 0, s62
	s_add_u32 s5, s5, s60
	s_mul_hi_u32 s1, s59, s0
	s_addc_u32 s5, s62, s58
	s_addc_u32 s1, s1, 0
	s_mul_i32 s0, s59, s0
	s_add_u32 s0, s5, s0
	s_addc_u32 s5, 0, s1
	s_add_u32 s58, s61, s0
	s_cselect_b64 s[0:1], -1, 0
	s_cmp_lg_u64 s[0:1], 0
	v_add_co_u32_e32 v3, vcc, v0, v7
	s_addc_u32 s5, s59, s5
	v_xor_b32_e32 v8, v3, v7
	v_mad_u64_u32 v[3:4], s[0:1], v8, s5, 0
	v_mul_hi_u32 v6, v8, s58
	v_addc_co_u32_e32 v5, vcc, v1, v7, vcc
	v_xor_b32_e32 v9, v5, v7
	v_add_co_u32_e32 v10, vcc, v6, v3
	v_addc_co_u32_e32 v11, vcc, 0, v4, vcc
	v_mad_u64_u32 v[3:4], s[0:1], v9, s58, 0
	v_mad_u64_u32 v[5:6], s[0:1], v9, s5, 0
	v_add_co_u32_e32 v3, vcc, v10, v3
	v_addc_co_u32_e32 v3, vcc, v11, v4, vcc
	v_addc_co_u32_e32 v4, vcc, 0, v6, vcc
	v_add_co_u32_e32 v5, vcc, v3, v5
	v_addc_co_u32_e32 v6, vcc, 0, v4, vcc
	v_mul_lo_u32 v10, s57, v5
	v_mul_lo_u32 v11, s56, v6
	v_mad_u64_u32 v[3:4], s[0:1], s56, v5, 0
	v_add3_u32 v4, v4, v11, v10
	v_sub_u32_e32 v10, v9, v4
	v_mov_b32_e32 v11, s57
	v_sub_co_u32_e32 v3, vcc, v8, v3
	v_subb_co_u32_e64 v8, s[0:1], v10, v11, vcc
	v_subrev_co_u32_e64 v10, s[0:1], s56, v3
	v_subbrev_co_u32_e64 v8, s[0:1], 0, v8, s[0:1]
	v_cmp_le_u32_e64 s[0:1], s57, v8
	v_cndmask_b32_e64 v11, 0, -1, s[0:1]
	v_cmp_le_u32_e64 s[0:1], s56, v10
	v_cndmask_b32_e64 v10, 0, -1, s[0:1]
	v_cmp_eq_u32_e64 s[0:1], s57, v8
	v_cndmask_b32_e64 v8, v11, v10, s[0:1]
	v_add_co_u32_e64 v10, s[0:1], 2, v5
	v_subb_co_u32_e32 v4, vcc, v9, v4, vcc
	v_addc_co_u32_e64 v11, s[0:1], 0, v6, s[0:1]
	v_cmp_le_u32_e32 vcc, s57, v4
	v_add_co_u32_e64 v12, s[0:1], 1, v5
	v_cndmask_b32_e64 v9, 0, -1, vcc
	v_cmp_le_u32_e32 vcc, s56, v3
	v_addc_co_u32_e64 v13, s[0:1], 0, v6, s[0:1]
	v_cndmask_b32_e64 v3, 0, -1, vcc
	v_cmp_eq_u32_e32 vcc, s57, v4
	v_cmp_ne_u32_e64 s[0:1], 0, v8
	v_cndmask_b32_e32 v3, v9, v3, vcc
	v_cmp_ne_u32_e32 vcc, 0, v3
	v_cndmask_b32_e64 v4, v12, v10, s[0:1]
	v_cndmask_b32_e64 v8, v13, v11, s[0:1]
	v_cndmask_b32_e32 v4, v5, v4, vcc
	v_xor_b32_e32 v5, s4, v7
	v_cndmask_b32_e32 v3, v6, v8, vcc
	v_xor_b32_e32 v4, v4, v5
	v_xor_b32_e32 v3, v3, v5
	v_sub_co_u32_e32 v4, vcc, v4, v5
	v_subb_co_u32_e32 v5, vcc, v3, v5, vcc
.LBB5_6:                                ;   in Loop: Header=BB5_4 Depth=1
	s_andn2_saveexec_b64 s[0:1], s[2:3]
	s_cbranch_execz .LBB5_8
; %bb.7:                                ;   in Loop: Header=BB5_4 Depth=1
	v_cvt_f32_u32_e32 v3, s8
	s_sub_i32 s2, 0, s8
	v_rcp_iflag_f32_e32 v3, v3
	v_mul_f32_e32 v3, 0x4f7ffffe, v3
	v_cvt_u32_f32_e32 v3, v3
	v_mul_lo_u32 v4, s2, v3
	v_mul_hi_u32 v4, v3, v4
	v_add_u32_e32 v3, v3, v4
	v_mul_hi_u32 v3, v0, v3
	v_mul_lo_u32 v4, v3, s8
	v_add_u32_e32 v5, 1, v3
	v_sub_u32_e32 v4, v0, v4
	v_subrev_u32_e32 v6, s8, v4
	v_cmp_le_u32_e32 vcc, s8, v4
	v_cndmask_b32_e32 v4, v4, v6, vcc
	v_cndmask_b32_e32 v3, v3, v5, vcc
	v_add_u32_e32 v5, 1, v3
	v_cmp_le_u32_e32 vcc, s8, v4
	v_cndmask_b32_e32 v4, v3, v5, vcc
	v_mov_b32_e32 v5, v2
.LBB5_8:                                ;   in Loop: Header=BB5_4 Depth=1
	s_or_b64 exec, exec, s[0:1]
	v_mul_lo_u32 v3, v5, s8
	v_mul_lo_u32 v6, v4, s9
	v_mad_u64_u32 v[8:9], s[0:1], v4, s8, 0
                                        ; implicit-def: $vgpr10_vgpr11
	v_add3_u32 v9, v9, v6, v3
	v_sub_co_u32_e32 v6, vcc, v0, v8
	v_subb_co_u32_e32 v7, vcc, v1, v9, vcc
	v_or_b32_e32 v3, s19, v7
	v_cmp_ne_u64_e32 vcc, 0, v[2:3]
	v_ashrrev_i32_e32 v16, 31, v7
	s_and_saveexec_b64 s[0:1], vcc
	s_xor_b64 s[2:3], exec, s[0:1]
	s_cbranch_execz .LBB5_10
; %bb.9:                                ;   in Loop: Header=BB5_4 Depth=1
	s_ashr_i32 s4, s19, 31
	s_add_u32 s0, s18, s4
	s_mov_b32 s5, s4
	s_addc_u32 s1, s19, s4
	s_xor_b64 s[56:57], s[0:1], s[4:5]
	v_cvt_f32_u32_e32 v3, s56
	v_cvt_f32_u32_e32 v10, s57
	s_sub_u32 s5, 0, s56
	s_subb_u32 s58, 0, s57
	v_mac_f32_e32 v3, 0x4f800000, v10
	v_rcp_f32_e32 v3, v3
	v_mul_f32_e32 v3, 0x5f7ffffc, v3
	v_mul_f32_e32 v10, 0x2f800000, v3
	v_trunc_f32_e32 v10, v10
	v_mac_f32_e32 v3, 0xcf800000, v10
	v_cvt_u32_f32_e32 v10, v10
	v_cvt_u32_f32_e32 v3, v3
	v_readfirstlane_b32 s59, v10
	v_readfirstlane_b32 s0, v3
	s_mul_i32 s1, s5, s59
	s_mul_hi_u32 s61, s5, s0
	s_mul_i32 s60, s58, s0
	s_add_i32 s1, s61, s1
	s_add_i32 s1, s1, s60
	s_mul_i32 s62, s5, s0
	s_mul_i32 s61, s0, s1
	s_mul_hi_u32 s63, s0, s62
	s_mul_hi_u32 s60, s0, s1
	s_add_u32 s61, s63, s61
	s_addc_u32 s60, 0, s60
	s_mul_hi_u32 s64, s59, s62
	s_mul_i32 s62, s59, s62
	s_add_u32 s61, s61, s62
	s_mul_hi_u32 s63, s59, s1
	s_addc_u32 s60, s60, s64
	s_addc_u32 s61, s63, 0
	s_mul_i32 s1, s59, s1
	s_add_u32 s1, s60, s1
	s_addc_u32 s60, 0, s61
	s_add_u32 s61, s0, s1
	s_cselect_b64 s[0:1], -1, 0
	s_cmp_lg_u64 s[0:1], 0
	s_addc_u32 s59, s59, s60
	s_mul_i32 s0, s5, s59
	s_mul_hi_u32 s1, s5, s61
	s_add_i32 s0, s1, s0
	s_mul_i32 s58, s58, s61
	s_add_i32 s0, s0, s58
	s_mul_i32 s5, s5, s61
	s_mul_hi_u32 s58, s59, s5
	s_mul_i32 s60, s59, s5
	s_mul_i32 s63, s61, s0
	s_mul_hi_u32 s5, s61, s5
	s_mul_hi_u32 s62, s61, s0
	s_add_u32 s5, s5, s63
	s_addc_u32 s62, 0, s62
	s_add_u32 s5, s5, s60
	s_mul_hi_u32 s1, s59, s0
	s_addc_u32 s5, s62, s58
	s_addc_u32 s1, s1, 0
	s_mul_i32 s0, s59, s0
	s_add_u32 s0, s5, s0
	s_addc_u32 s5, 0, s1
	s_add_u32 s58, s61, s0
	s_cselect_b64 s[0:1], -1, 0
	s_cmp_lg_u64 s[0:1], 0
	v_add_co_u32_e32 v3, vcc, v6, v16
	s_addc_u32 s5, s59, s5
	v_xor_b32_e32 v3, v3, v16
	v_mad_u64_u32 v[10:11], s[0:1], v3, s5, 0
	v_mul_hi_u32 v13, v3, s58
	v_addc_co_u32_e32 v12, vcc, v7, v16, vcc
	v_xor_b32_e32 v14, v12, v16
	v_add_co_u32_e32 v15, vcc, v13, v10
	v_addc_co_u32_e32 v17, vcc, 0, v11, vcc
	v_mad_u64_u32 v[10:11], s[0:1], v14, s58, 0
	v_mad_u64_u32 v[12:13], s[0:1], v14, s5, 0
	v_add_co_u32_e32 v10, vcc, v15, v10
	v_addc_co_u32_e32 v10, vcc, v17, v11, vcc
	v_addc_co_u32_e32 v11, vcc, 0, v13, vcc
	v_add_co_u32_e32 v12, vcc, v10, v12
	v_addc_co_u32_e32 v13, vcc, 0, v11, vcc
	v_mul_lo_u32 v15, s57, v12
	v_mul_lo_u32 v17, s56, v13
	v_mad_u64_u32 v[10:11], s[0:1], s56, v12, 0
	v_add3_u32 v11, v11, v17, v15
	v_sub_u32_e32 v15, v14, v11
	v_mov_b32_e32 v17, s57
	v_sub_co_u32_e32 v3, vcc, v3, v10
	v_subb_co_u32_e64 v10, s[0:1], v15, v17, vcc
	v_subrev_co_u32_e64 v15, s[0:1], s56, v3
	v_subbrev_co_u32_e64 v10, s[0:1], 0, v10, s[0:1]
	v_cmp_le_u32_e64 s[0:1], s57, v10
	v_cndmask_b32_e64 v17, 0, -1, s[0:1]
	v_cmp_le_u32_e64 s[0:1], s56, v15
	v_cndmask_b32_e64 v15, 0, -1, s[0:1]
	v_cmp_eq_u32_e64 s[0:1], s57, v10
	v_cndmask_b32_e64 v10, v17, v15, s[0:1]
	v_add_co_u32_e64 v15, s[0:1], 2, v12
	v_subb_co_u32_e32 v11, vcc, v14, v11, vcc
	v_addc_co_u32_e64 v17, s[0:1], 0, v13, s[0:1]
	v_cmp_le_u32_e32 vcc, s57, v11
	v_add_co_u32_e64 v18, s[0:1], 1, v12
	v_cndmask_b32_e64 v14, 0, -1, vcc
	v_cmp_le_u32_e32 vcc, s56, v3
	v_addc_co_u32_e64 v19, s[0:1], 0, v13, s[0:1]
	v_cndmask_b32_e64 v3, 0, -1, vcc
	v_cmp_eq_u32_e32 vcc, s57, v11
	v_cmp_ne_u32_e64 s[0:1], 0, v10
	v_cndmask_b32_e32 v3, v14, v3, vcc
	v_cndmask_b32_e64 v10, v19, v17, s[0:1]
	v_cmp_ne_u32_e32 vcc, 0, v3
	v_cndmask_b32_e32 v3, v13, v10, vcc
	v_cndmask_b32_e64 v10, v18, v15, s[0:1]
	v_cndmask_b32_e32 v10, v12, v10, vcc
	v_xor_b32_e32 v11, s4, v16
	v_xor_b32_e32 v10, v10, v11
	;; [unrolled: 1-line block ×3, first 2 shown]
	v_sub_co_u32_e32 v10, vcc, v10, v11
	v_subb_co_u32_e32 v11, vcc, v3, v11, vcc
.LBB5_10:                               ;   in Loop: Header=BB5_4 Depth=1
	s_andn2_saveexec_b64 s[0:1], s[2:3]
	s_cbranch_execz .LBB5_12
; %bb.11:                               ;   in Loop: Header=BB5_4 Depth=1
	v_cvt_f32_u32_e32 v3, s18
	s_sub_i32 s2, 0, s18
	v_rcp_iflag_f32_e32 v3, v3
	v_mul_f32_e32 v3, 0x4f7ffffe, v3
	v_cvt_u32_f32_e32 v3, v3
	v_mul_lo_u32 v10, s2, v3
	v_mul_hi_u32 v10, v3, v10
	v_add_u32_e32 v3, v3, v10
	v_mul_hi_u32 v3, v6, v3
	v_mul_lo_u32 v10, v3, s18
	v_add_u32_e32 v11, 1, v3
	v_sub_u32_e32 v10, v6, v10
	v_subrev_u32_e32 v12, s18, v10
	v_cmp_le_u32_e32 vcc, s18, v10
	v_cndmask_b32_e32 v10, v10, v12, vcc
	v_cndmask_b32_e32 v3, v3, v11, vcc
	v_add_u32_e32 v11, 1, v3
	v_cmp_le_u32_e32 vcc, s18, v10
	v_cndmask_b32_e32 v10, v3, v11, vcc
	v_mov_b32_e32 v11, v2
.LBB5_12:                               ;   in Loop: Header=BB5_4 Depth=1
	s_or_b64 exec, exec, s[0:1]
	v_or_b32_e32 v3, s17, v11
	v_cmp_ne_u64_e32 vcc, 0, v[2:3]
                                        ; implicit-def: $vgpr12_vgpr13
	s_and_saveexec_b64 s[0:1], vcc
	s_xor_b64 s[4:5], exec, s[0:1]
	s_cbranch_execz .LBB5_14
; %bb.13:                               ;   in Loop: Header=BB5_4 Depth=1
	s_ashr_i32 s0, s17, 31
	s_add_u32 s2, s16, s0
	s_mov_b32 s1, s0
	s_addc_u32 s3, s17, s0
	s_xor_b64 s[56:57], s[2:3], s[0:1]
	v_cvt_f32_u32_e32 v3, s56
	v_cvt_f32_u32_e32 v12, s57
	s_sub_u32 s2, 0, s56
	s_subb_u32 s3, 0, s57
	v_mac_f32_e32 v3, 0x4f800000, v12
	v_rcp_f32_e32 v3, v3
	v_mul_f32_e32 v3, 0x5f7ffffc, v3
	v_mul_f32_e32 v12, 0x2f800000, v3
	v_trunc_f32_e32 v12, v12
	v_mac_f32_e32 v3, 0xcf800000, v12
	v_cvt_u32_f32_e32 v12, v12
	v_cvt_u32_f32_e32 v3, v3
	v_readfirstlane_b32 s58, v12
	v_readfirstlane_b32 s0, v3
	s_mul_i32 s1, s2, s58
	s_mul_hi_u32 s60, s2, s0
	s_mul_i32 s59, s3, s0
	s_add_i32 s1, s60, s1
	s_add_i32 s1, s1, s59
	s_mul_i32 s61, s2, s0
	s_mul_i32 s60, s0, s1
	s_mul_hi_u32 s62, s0, s61
	s_mul_hi_u32 s59, s0, s1
	s_add_u32 s60, s62, s60
	s_addc_u32 s59, 0, s59
	s_mul_hi_u32 s63, s58, s61
	s_mul_i32 s61, s58, s61
	s_add_u32 s60, s60, s61
	s_mul_hi_u32 s62, s58, s1
	s_addc_u32 s59, s59, s63
	s_addc_u32 s60, s62, 0
	s_mul_i32 s1, s58, s1
	s_add_u32 s1, s59, s1
	s_addc_u32 s59, 0, s60
	s_add_u32 s60, s0, s1
	s_cselect_b64 s[0:1], -1, 0
	s_cmp_lg_u64 s[0:1], 0
	s_addc_u32 s58, s58, s59
	s_mul_i32 s0, s2, s58
	s_mul_hi_u32 s1, s2, s60
	s_add_i32 s0, s1, s0
	s_mul_i32 s3, s3, s60
	s_add_i32 s0, s0, s3
	s_mul_i32 s2, s2, s60
	s_mul_hi_u32 s3, s58, s2
	s_mul_i32 s59, s58, s2
	s_mul_i32 s62, s60, s0
	s_mul_hi_u32 s2, s60, s2
	s_mul_hi_u32 s61, s60, s0
	s_add_u32 s2, s2, s62
	s_addc_u32 s61, 0, s61
	s_add_u32 s2, s2, s59
	s_mul_hi_u32 s1, s58, s0
	s_addc_u32 s2, s61, s3
	s_addc_u32 s1, s1, 0
	s_mul_i32 s0, s58, s0
	s_add_u32 s0, s2, s0
	s_addc_u32 s2, 0, s1
	s_add_u32 s3, s60, s0
	s_cselect_b64 s[0:1], -1, 0
	v_ashrrev_i32_e32 v3, 31, v11
	s_cmp_lg_u64 s[0:1], 0
	v_add_co_u32_e32 v12, vcc, v10, v3
	s_addc_u32 s2, s58, s2
	v_xor_b32_e32 v17, v12, v3
	v_mad_u64_u32 v[12:13], s[0:1], v17, s2, 0
	v_mul_hi_u32 v15, v17, s3
	v_addc_co_u32_e32 v14, vcc, v11, v3, vcc
	v_xor_b32_e32 v18, v14, v3
	v_add_co_u32_e32 v19, vcc, v15, v12
	v_addc_co_u32_e32 v20, vcc, 0, v13, vcc
	v_mad_u64_u32 v[12:13], s[0:1], v18, s3, 0
	v_mad_u64_u32 v[14:15], s[0:1], v18, s2, 0
	v_add_co_u32_e32 v12, vcc, v19, v12
	v_addc_co_u32_e32 v12, vcc, v20, v13, vcc
	v_addc_co_u32_e32 v13, vcc, 0, v15, vcc
	v_add_co_u32_e32 v12, vcc, v12, v14
	v_addc_co_u32_e32 v13, vcc, 0, v13, vcc
	v_mul_lo_u32 v14, s57, v12
	v_mul_lo_u32 v15, s56, v13
	v_mad_u64_u32 v[12:13], s[0:1], s56, v12, 0
	v_add3_u32 v13, v13, v15, v14
	v_sub_u32_e32 v14, v18, v13
	v_mov_b32_e32 v15, s57
	v_sub_co_u32_e32 v12, vcc, v17, v12
	v_subb_co_u32_e64 v14, s[0:1], v14, v15, vcc
	v_subrev_co_u32_e64 v17, s[0:1], s56, v12
	v_subbrev_co_u32_e64 v19, s[2:3], 0, v14, s[0:1]
	v_cmp_le_u32_e64 s[2:3], s57, v19
	v_cndmask_b32_e64 v20, 0, -1, s[2:3]
	v_cmp_le_u32_e64 s[2:3], s56, v17
	v_subb_co_u32_e64 v14, s[0:1], v14, v15, s[0:1]
	v_cndmask_b32_e64 v21, 0, -1, s[2:3]
	v_cmp_eq_u32_e64 s[2:3], s57, v19
	v_subrev_co_u32_e64 v15, s[0:1], s56, v17
	v_subb_co_u32_e32 v13, vcc, v18, v13, vcc
	v_cndmask_b32_e64 v20, v20, v21, s[2:3]
	v_subbrev_co_u32_e64 v14, s[0:1], 0, v14, s[0:1]
	v_cmp_le_u32_e32 vcc, s57, v13
	v_cmp_ne_u32_e64 s[0:1], 0, v20
	v_cndmask_b32_e64 v18, 0, -1, vcc
	v_cmp_le_u32_e32 vcc, s56, v12
	v_cndmask_b32_e64 v14, v19, v14, s[0:1]
	v_cndmask_b32_e64 v19, 0, -1, vcc
	v_cmp_eq_u32_e32 vcc, s57, v13
	v_cndmask_b32_e32 v18, v18, v19, vcc
	v_cmp_ne_u32_e32 vcc, 0, v18
	v_cndmask_b32_e32 v13, v13, v14, vcc
	v_cndmask_b32_e64 v14, v17, v15, s[0:1]
	v_cndmask_b32_e32 v12, v12, v14, vcc
	v_xor_b32_e32 v12, v12, v3
	v_xor_b32_e32 v13, v13, v3
	v_sub_co_u32_e32 v12, vcc, v12, v3
	v_subb_co_u32_e32 v13, vcc, v13, v3, vcc
.LBB5_14:                               ;   in Loop: Header=BB5_4 Depth=1
	s_andn2_saveexec_b64 s[0:1], s[4:5]
	s_cbranch_execz .LBB5_16
; %bb.15:                               ;   in Loop: Header=BB5_4 Depth=1
	v_cvt_f32_u32_e32 v3, s16
	s_sub_i32 s2, 0, s16
	v_mov_b32_e32 v13, v2
	v_rcp_iflag_f32_e32 v3, v3
	v_mul_f32_e32 v3, 0x4f7ffffe, v3
	v_cvt_u32_f32_e32 v3, v3
	v_mul_lo_u32 v12, s2, v3
	v_mul_hi_u32 v12, v3, v12
	v_add_u32_e32 v3, v3, v12
	v_mul_hi_u32 v3, v10, v3
	v_mul_lo_u32 v3, v3, s16
	v_sub_u32_e32 v3, v10, v3
	v_subrev_u32_e32 v12, s16, v3
	v_cmp_le_u32_e32 vcc, s16, v3
	v_cndmask_b32_e32 v3, v3, v12, vcc
	v_subrev_u32_e32 v12, s16, v3
	v_cmp_le_u32_e32 vcc, s16, v3
	v_cndmask_b32_e32 v12, v3, v12, vcc
.LBB5_16:                               ;   in Loop: Header=BB5_4 Depth=1
	s_or_b64 exec, exec, s[0:1]
	v_or_b32_e32 v3, s33, v7
	v_cmp_ne_u64_e32 vcc, 0, v[2:3]
                                        ; implicit-def: $vgpr14_vgpr15
	s_and_saveexec_b64 s[0:1], vcc
	s_xor_b64 s[2:3], exec, s[0:1]
	s_cbranch_execz .LBB5_18
; %bb.17:                               ;   in Loop: Header=BB5_4 Depth=1
	s_ashr_i32 s4, s33, 31
	s_add_u32 s0, s72, s4
	s_mov_b32 s5, s4
	s_addc_u32 s1, s33, s4
	s_xor_b64 s[56:57], s[0:1], s[4:5]
	v_cvt_f32_u32_e32 v3, s56
	v_cvt_f32_u32_e32 v14, s57
	s_sub_u32 s5, 0, s56
	s_subb_u32 s58, 0, s57
	v_mac_f32_e32 v3, 0x4f800000, v14
	v_rcp_f32_e32 v3, v3
	v_mul_f32_e32 v3, 0x5f7ffffc, v3
	v_mul_f32_e32 v14, 0x2f800000, v3
	v_trunc_f32_e32 v14, v14
	v_mac_f32_e32 v3, 0xcf800000, v14
	v_cvt_u32_f32_e32 v14, v14
	v_cvt_u32_f32_e32 v3, v3
	v_readfirstlane_b32 s59, v14
	v_readfirstlane_b32 s0, v3
	s_mul_i32 s1, s5, s59
	s_mul_hi_u32 s61, s5, s0
	s_mul_i32 s60, s58, s0
	s_add_i32 s1, s61, s1
	s_add_i32 s1, s1, s60
	s_mul_i32 s62, s5, s0
	s_mul_i32 s61, s0, s1
	s_mul_hi_u32 s63, s0, s62
	s_mul_hi_u32 s60, s0, s1
	s_add_u32 s61, s63, s61
	s_addc_u32 s60, 0, s60
	s_mul_hi_u32 s64, s59, s62
	s_mul_i32 s62, s59, s62
	s_add_u32 s61, s61, s62
	s_mul_hi_u32 s63, s59, s1
	s_addc_u32 s60, s60, s64
	s_addc_u32 s61, s63, 0
	s_mul_i32 s1, s59, s1
	s_add_u32 s1, s60, s1
	s_addc_u32 s60, 0, s61
	s_add_u32 s61, s0, s1
	s_cselect_b64 s[0:1], -1, 0
	s_cmp_lg_u64 s[0:1], 0
	s_addc_u32 s59, s59, s60
	s_mul_i32 s0, s5, s59
	s_mul_hi_u32 s1, s5, s61
	s_add_i32 s0, s1, s0
	s_mul_i32 s58, s58, s61
	s_add_i32 s0, s0, s58
	s_mul_i32 s5, s5, s61
	s_mul_hi_u32 s58, s59, s5
	s_mul_i32 s60, s59, s5
	s_mul_i32 s63, s61, s0
	s_mul_hi_u32 s5, s61, s5
	s_mul_hi_u32 s62, s61, s0
	s_add_u32 s5, s5, s63
	s_addc_u32 s62, 0, s62
	s_add_u32 s5, s5, s60
	s_mul_hi_u32 s1, s59, s0
	s_addc_u32 s5, s62, s58
	s_addc_u32 s1, s1, 0
	s_mul_i32 s0, s59, s0
	s_add_u32 s0, s5, s0
	s_addc_u32 s5, 0, s1
	s_add_u32 s58, s61, s0
	s_cselect_b64 s[0:1], -1, 0
	s_cmp_lg_u64 s[0:1], 0
	v_add_co_u32_e32 v3, vcc, v6, v16
	s_addc_u32 s5, s59, s5
	v_xor_b32_e32 v3, v3, v16
	v_mad_u64_u32 v[14:15], s[0:1], v3, s5, 0
	v_mul_hi_u32 v18, v3, s58
	v_addc_co_u32_e32 v17, vcc, v7, v16, vcc
	v_xor_b32_e32 v19, v17, v16
	v_add_co_u32_e32 v20, vcc, v18, v14
	v_addc_co_u32_e32 v21, vcc, 0, v15, vcc
	v_mad_u64_u32 v[14:15], s[0:1], v19, s58, 0
	v_mad_u64_u32 v[17:18], s[0:1], v19, s5, 0
	v_add_co_u32_e32 v14, vcc, v20, v14
	v_addc_co_u32_e32 v14, vcc, v21, v15, vcc
	v_addc_co_u32_e32 v15, vcc, 0, v18, vcc
	v_add_co_u32_e32 v17, vcc, v14, v17
	v_addc_co_u32_e32 v18, vcc, 0, v15, vcc
	v_mul_lo_u32 v20, s57, v17
	v_mul_lo_u32 v21, s56, v18
	v_mad_u64_u32 v[14:15], s[0:1], s56, v17, 0
	v_add3_u32 v15, v15, v21, v20
	v_sub_u32_e32 v20, v19, v15
	v_mov_b32_e32 v21, s57
	v_sub_co_u32_e32 v3, vcc, v3, v14
	v_subb_co_u32_e64 v14, s[0:1], v20, v21, vcc
	v_subrev_co_u32_e64 v20, s[0:1], s56, v3
	v_subbrev_co_u32_e64 v14, s[0:1], 0, v14, s[0:1]
	v_cmp_le_u32_e64 s[0:1], s57, v14
	v_cndmask_b32_e64 v21, 0, -1, s[0:1]
	v_cmp_le_u32_e64 s[0:1], s56, v20
	v_cndmask_b32_e64 v20, 0, -1, s[0:1]
	v_cmp_eq_u32_e64 s[0:1], s57, v14
	v_cndmask_b32_e64 v14, v21, v20, s[0:1]
	v_add_co_u32_e64 v20, s[0:1], 2, v17
	v_subb_co_u32_e32 v15, vcc, v19, v15, vcc
	v_addc_co_u32_e64 v21, s[0:1], 0, v18, s[0:1]
	v_cmp_le_u32_e32 vcc, s57, v15
	v_add_co_u32_e64 v22, s[0:1], 1, v17
	v_cndmask_b32_e64 v19, 0, -1, vcc
	v_cmp_le_u32_e32 vcc, s56, v3
	v_addc_co_u32_e64 v23, s[0:1], 0, v18, s[0:1]
	v_cndmask_b32_e64 v3, 0, -1, vcc
	v_cmp_eq_u32_e32 vcc, s57, v15
	v_cmp_ne_u32_e64 s[0:1], 0, v14
	v_cndmask_b32_e32 v3, v19, v3, vcc
	v_cndmask_b32_e64 v14, v23, v21, s[0:1]
	v_cmp_ne_u32_e32 vcc, 0, v3
	v_cndmask_b32_e32 v3, v18, v14, vcc
	v_cndmask_b32_e64 v14, v22, v20, s[0:1]
	v_cndmask_b32_e32 v14, v17, v14, vcc
	v_xor_b32_e32 v15, s4, v16
	v_xor_b32_e32 v14, v14, v15
	;; [unrolled: 1-line block ×3, first 2 shown]
	v_sub_co_u32_e32 v14, vcc, v14, v15
	v_subb_co_u32_e32 v15, vcc, v3, v15, vcc
.LBB5_18:                               ;   in Loop: Header=BB5_4 Depth=1
	s_andn2_saveexec_b64 s[0:1], s[2:3]
	s_cbranch_execz .LBB5_20
; %bb.19:                               ;   in Loop: Header=BB5_4 Depth=1
	v_cvt_f32_u32_e32 v3, s72
	s_sub_i32 s2, 0, s72
	v_rcp_iflag_f32_e32 v3, v3
	v_mul_f32_e32 v3, 0x4f7ffffe, v3
	v_cvt_u32_f32_e32 v3, v3
	v_mul_lo_u32 v14, s2, v3
	v_mul_hi_u32 v14, v3, v14
	v_add_u32_e32 v3, v3, v14
	v_mul_hi_u32 v3, v6, v3
	v_mul_lo_u32 v14, v3, s72
	v_add_u32_e32 v15, 1, v3
	v_sub_u32_e32 v14, v6, v14
	v_subrev_u32_e32 v16, s72, v14
	v_cmp_le_u32_e32 vcc, s72, v14
	v_cndmask_b32_e32 v14, v14, v16, vcc
	v_cndmask_b32_e32 v3, v3, v15, vcc
	v_add_u32_e32 v15, 1, v3
	v_cmp_le_u32_e32 vcc, s72, v14
	v_cndmask_b32_e32 v14, v3, v15, vcc
	v_mov_b32_e32 v15, v2
.LBB5_20:                               ;   in Loop: Header=BB5_4 Depth=1
	s_or_b64 exec, exec, s[0:1]
	v_mul_lo_u32 v3, v11, s18
	v_mul_lo_u32 v11, v10, s19
	v_mad_u64_u32 v[16:17], s[0:1], v10, s18, 0
	v_add3_u32 v17, v17, v11, v3
	v_sub_co_u32_e32 v3, vcc, v6, v16
	v_subb_co_u32_e32 v10, vcc, v7, v17, vcc
	v_mov_b32_e32 v11, s39
	v_add_co_u32_e32 v18, vcc, s38, v3
	v_addc_co_u32_e32 v19, vcc, v10, v11, vcc
	v_cmp_lt_i64_e32 vcc, s[14:15], v[18:19]
	v_mov_b32_e32 v10, 0
	v_mov_b32_e32 v11, 0
	s_and_saveexec_b64 s[2:3], vcc
	s_cbranch_execz .LBB5_26
; %bb.21:                               ;   in Loop: Header=BB5_4 Depth=1
	v_mov_b32_e32 v3, s35
	v_add_co_u32_e32 v20, vcc, s34, v18
	v_addc_co_u32_e32 v21, vcc, v19, v3, vcc
	v_or_b32_e32 v3, s43, v21
	v_cmp_ne_u64_e32 vcc, 0, v[2:3]
                                        ; implicit-def: $vgpr10_vgpr11
	s_and_saveexec_b64 s[0:1], vcc
	s_xor_b64 s[4:5], exec, s[0:1]
	s_cbranch_execz .LBB5_23
; %bb.22:                               ;   in Loop: Header=BB5_4 Depth=1
	s_ashr_i32 s56, s43, 31
	s_add_u32 s0, s42, s56
	s_mov_b32 s57, s56
	s_addc_u32 s1, s43, s56
	s_xor_b64 s[58:59], s[0:1], s[56:57]
	v_cvt_f32_u32_e32 v3, s58
	v_cvt_f32_u32_e32 v10, s59
	s_sub_u32 s57, 0, s58
	s_subb_u32 s60, 0, s59
	v_mac_f32_e32 v3, 0x4f800000, v10
	v_rcp_f32_e32 v3, v3
	v_mul_f32_e32 v3, 0x5f7ffffc, v3
	v_mul_f32_e32 v10, 0x2f800000, v3
	v_trunc_f32_e32 v10, v10
	v_mac_f32_e32 v3, 0xcf800000, v10
	v_cvt_u32_f32_e32 v10, v10
	v_cvt_u32_f32_e32 v3, v3
	v_readfirstlane_b32 s61, v10
	v_readfirstlane_b32 s0, v3
	s_mul_i32 s1, s57, s61
	s_mul_hi_u32 s63, s57, s0
	s_mul_i32 s62, s60, s0
	s_add_i32 s1, s63, s1
	s_add_i32 s1, s1, s62
	s_mul_i32 s64, s57, s0
	s_mul_i32 s63, s0, s1
	s_mul_hi_u32 s65, s0, s64
	s_mul_hi_u32 s62, s0, s1
	s_add_u32 s63, s65, s63
	s_addc_u32 s62, 0, s62
	s_mul_hi_u32 s66, s61, s64
	s_mul_i32 s64, s61, s64
	s_add_u32 s63, s63, s64
	s_mul_hi_u32 s65, s61, s1
	s_addc_u32 s62, s62, s66
	s_addc_u32 s63, s65, 0
	s_mul_i32 s1, s61, s1
	s_add_u32 s1, s62, s1
	s_addc_u32 s62, 0, s63
	s_add_u32 s63, s0, s1
	s_cselect_b64 s[0:1], -1, 0
	s_cmp_lg_u64 s[0:1], 0
	s_addc_u32 s61, s61, s62
	s_mul_i32 s0, s57, s61
	s_mul_hi_u32 s1, s57, s63
	s_add_i32 s0, s1, s0
	s_mul_i32 s60, s60, s63
	s_add_i32 s0, s0, s60
	s_mul_i32 s57, s57, s63
	s_mul_hi_u32 s60, s61, s57
	s_mul_i32 s62, s61, s57
	s_mul_i32 s65, s63, s0
	s_mul_hi_u32 s57, s63, s57
	s_mul_hi_u32 s64, s63, s0
	s_add_u32 s57, s57, s65
	s_addc_u32 s64, 0, s64
	s_add_u32 s57, s57, s62
	s_mul_hi_u32 s1, s61, s0
	s_addc_u32 s57, s64, s60
	s_addc_u32 s1, s1, 0
	s_mul_i32 s0, s61, s0
	s_add_u32 s0, s57, s0
	s_addc_u32 s57, 0, s1
	s_add_u32 s60, s63, s0
	s_cselect_b64 s[0:1], -1, 0
	v_ashrrev_i32_e32 v3, 31, v21
	s_cmp_lg_u64 s[0:1], 0
	v_add_co_u32_e32 v10, vcc, v20, v3
	s_addc_u32 s57, s61, s57
	v_xor_b32_e32 v22, v10, v3
	v_addc_co_u32_e32 v20, vcc, v21, v3, vcc
	v_mad_u64_u32 v[10:11], s[0:1], v22, s57, 0
	v_mul_hi_u32 v21, v22, s60
	v_xor_b32_e32 v23, v20, v3
	v_xor_b32_e32 v3, s56, v3
	v_add_co_u32_e32 v24, vcc, v21, v10
	v_addc_co_u32_e32 v25, vcc, 0, v11, vcc
	v_mad_u64_u32 v[10:11], s[0:1], v23, s60, 0
	v_mad_u64_u32 v[20:21], s[0:1], v23, s57, 0
	v_add_co_u32_e32 v10, vcc, v24, v10
	v_addc_co_u32_e32 v10, vcc, v25, v11, vcc
	v_addc_co_u32_e32 v11, vcc, 0, v21, vcc
	v_add_co_u32_e32 v20, vcc, v10, v20
	v_addc_co_u32_e32 v21, vcc, 0, v11, vcc
	v_mul_lo_u32 v24, s59, v20
	v_mul_lo_u32 v25, s58, v21
	v_mad_u64_u32 v[10:11], s[0:1], s58, v20, 0
	v_add3_u32 v11, v11, v25, v24
	v_sub_u32_e32 v24, v23, v11
	v_mov_b32_e32 v25, s59
	v_sub_co_u32_e32 v10, vcc, v22, v10
	v_subb_co_u32_e64 v22, s[0:1], v24, v25, vcc
	v_subrev_co_u32_e64 v24, s[0:1], s58, v10
	v_subbrev_co_u32_e64 v22, s[0:1], 0, v22, s[0:1]
	v_cmp_le_u32_e64 s[0:1], s59, v22
	v_cndmask_b32_e64 v25, 0, -1, s[0:1]
	v_cmp_le_u32_e64 s[0:1], s58, v24
	v_cndmask_b32_e64 v24, 0, -1, s[0:1]
	v_cmp_eq_u32_e64 s[0:1], s59, v22
	v_cndmask_b32_e64 v22, v25, v24, s[0:1]
	v_add_co_u32_e64 v24, s[0:1], 2, v20
	v_subb_co_u32_e32 v11, vcc, v23, v11, vcc
	v_addc_co_u32_e64 v25, s[0:1], 0, v21, s[0:1]
	v_cmp_le_u32_e32 vcc, s59, v11
	v_add_co_u32_e64 v26, s[0:1], 1, v20
	v_cndmask_b32_e64 v23, 0, -1, vcc
	v_cmp_le_u32_e32 vcc, s58, v10
	v_addc_co_u32_e64 v27, s[0:1], 0, v21, s[0:1]
	v_cndmask_b32_e64 v10, 0, -1, vcc
	v_cmp_eq_u32_e32 vcc, s59, v11
	v_cmp_ne_u32_e64 s[0:1], 0, v22
	v_cndmask_b32_e32 v10, v23, v10, vcc
	v_cndmask_b32_e64 v22, v27, v25, s[0:1]
	v_cmp_ne_u32_e32 vcc, 0, v10
	v_cndmask_b32_e64 v11, v26, v24, s[0:1]
	v_cndmask_b32_e32 v10, v21, v22, vcc
	v_cndmask_b32_e32 v11, v20, v11, vcc
	v_xor_b32_e32 v20, v10, v3
	v_xor_b32_e32 v10, v11, v3
	v_sub_co_u32_e32 v10, vcc, v10, v3
	v_subb_co_u32_e32 v11, vcc, v20, v3, vcc
                                        ; implicit-def: $vgpr20
.LBB5_23:                               ;   in Loop: Header=BB5_4 Depth=1
	s_andn2_saveexec_b64 s[0:1], s[4:5]
	s_cbranch_execz .LBB5_25
; %bb.24:                               ;   in Loop: Header=BB5_4 Depth=1
	v_cvt_f32_u32_e32 v3, s42
	s_sub_i32 s4, 0, s42
	v_rcp_iflag_f32_e32 v3, v3
	v_mul_f32_e32 v3, 0x4f7ffffe, v3
	v_cvt_u32_f32_e32 v3, v3
	v_mul_lo_u32 v10, s4, v3
	v_mul_hi_u32 v10, v3, v10
	v_add_u32_e32 v3, v3, v10
	v_mul_hi_u32 v3, v20, v3
	v_mul_lo_u32 v10, v3, s42
	v_add_u32_e32 v11, 1, v3
	v_sub_u32_e32 v10, v20, v10
	v_subrev_u32_e32 v20, s42, v10
	v_cmp_le_u32_e32 vcc, s42, v10
	v_cndmask_b32_e32 v10, v10, v20, vcc
	v_cndmask_b32_e32 v3, v3, v11, vcc
	v_add_u32_e32 v11, 1, v3
	v_cmp_le_u32_e32 vcc, s42, v10
	v_cndmask_b32_e32 v10, v3, v11, vcc
	v_mov_b32_e32 v11, v2
.LBB5_25:                               ;   in Loop: Header=BB5_4 Depth=1
	s_or_b64 exec, exec, s[0:1]
	v_add_co_u32_e32 v10, vcc, 1, v10
	v_addc_co_u32_e32 v11, vcc, 0, v11, vcc
.LBB5_26:                               ;   in Loop: Header=BB5_4 Depth=1
	s_or_b64 exec, exec, s[2:3]
	v_or_b32_e32 v3, s43, v19
	v_cmp_ne_u64_e32 vcc, 0, v[2:3]
                                        ; implicit-def: $vgpr22_vgpr23
	s_and_saveexec_b64 s[0:1], vcc
	s_xor_b64 s[2:3], exec, s[0:1]
	s_cbranch_execz .LBB5_28
; %bb.27:                               ;   in Loop: Header=BB5_4 Depth=1
	s_ashr_i32 s4, s43, 31
	s_add_u32 s0, s42, s4
	s_mov_b32 s5, s4
	s_addc_u32 s1, s43, s4
	s_xor_b64 s[56:57], s[0:1], s[4:5]
	v_cvt_f32_u32_e32 v3, s56
	v_cvt_f32_u32_e32 v20, s57
	s_sub_u32 s5, 0, s56
	s_subb_u32 s58, 0, s57
	v_mac_f32_e32 v3, 0x4f800000, v20
	v_rcp_f32_e32 v3, v3
	v_mul_f32_e32 v3, 0x5f7ffffc, v3
	v_mul_f32_e32 v20, 0x2f800000, v3
	v_trunc_f32_e32 v20, v20
	v_mac_f32_e32 v3, 0xcf800000, v20
	v_cvt_u32_f32_e32 v20, v20
	v_cvt_u32_f32_e32 v3, v3
	v_readfirstlane_b32 s59, v20
	v_readfirstlane_b32 s0, v3
	s_mul_i32 s1, s5, s59
	s_mul_hi_u32 s61, s5, s0
	s_mul_i32 s60, s58, s0
	s_add_i32 s1, s61, s1
	s_add_i32 s1, s1, s60
	s_mul_i32 s62, s5, s0
	s_mul_i32 s61, s0, s1
	s_mul_hi_u32 s63, s0, s62
	s_mul_hi_u32 s60, s0, s1
	s_add_u32 s61, s63, s61
	s_addc_u32 s60, 0, s60
	s_mul_hi_u32 s64, s59, s62
	s_mul_i32 s62, s59, s62
	s_add_u32 s61, s61, s62
	s_mul_hi_u32 s63, s59, s1
	s_addc_u32 s60, s60, s64
	s_addc_u32 s61, s63, 0
	s_mul_i32 s1, s59, s1
	s_add_u32 s1, s60, s1
	s_addc_u32 s60, 0, s61
	s_add_u32 s61, s0, s1
	s_cselect_b64 s[0:1], -1, 0
	s_cmp_lg_u64 s[0:1], 0
	s_addc_u32 s59, s59, s60
	s_mul_i32 s0, s5, s59
	s_mul_hi_u32 s1, s5, s61
	s_add_i32 s0, s1, s0
	s_mul_i32 s58, s58, s61
	s_add_i32 s0, s0, s58
	s_mul_i32 s5, s5, s61
	s_mul_hi_u32 s58, s59, s5
	s_mul_i32 s60, s59, s5
	s_mul_i32 s63, s61, s0
	s_mul_hi_u32 s5, s61, s5
	s_mul_hi_u32 s62, s61, s0
	s_add_u32 s5, s5, s63
	s_addc_u32 s62, 0, s62
	s_add_u32 s5, s5, s60
	s_mul_hi_u32 s1, s59, s0
	s_addc_u32 s5, s62, s58
	s_addc_u32 s1, s1, 0
	s_mul_i32 s0, s59, s0
	s_add_u32 s0, s5, s0
	s_addc_u32 s5, 0, s1
	s_add_u32 s58, s61, s0
	s_cselect_b64 s[0:1], -1, 0
	v_ashrrev_i32_e32 v3, 31, v19
	s_cmp_lg_u64 s[0:1], 0
	v_add_co_u32_e32 v18, vcc, v18, v3
	s_addc_u32 s5, s59, s5
	v_xor_b32_e32 v22, v18, v3
	v_addc_co_u32_e32 v20, vcc, v19, v3, vcc
	v_mad_u64_u32 v[18:19], s[0:1], v22, s5, 0
	v_mul_hi_u32 v21, v22, s58
	v_xor_b32_e32 v23, v20, v3
	v_xor_b32_e32 v3, s4, v3
	v_add_co_u32_e32 v24, vcc, v21, v18
	v_addc_co_u32_e32 v25, vcc, 0, v19, vcc
	v_mad_u64_u32 v[18:19], s[0:1], v23, s58, 0
	v_mad_u64_u32 v[20:21], s[0:1], v23, s5, 0
	v_add_co_u32_e32 v18, vcc, v24, v18
	v_addc_co_u32_e32 v18, vcc, v25, v19, vcc
	v_addc_co_u32_e32 v19, vcc, 0, v21, vcc
	v_add_co_u32_e32 v20, vcc, v18, v20
	v_addc_co_u32_e32 v21, vcc, 0, v19, vcc
	v_mul_lo_u32 v24, s57, v20
	v_mul_lo_u32 v25, s56, v21
	v_mad_u64_u32 v[18:19], s[0:1], s56, v20, 0
	v_add3_u32 v19, v19, v25, v24
	v_sub_u32_e32 v24, v23, v19
	v_mov_b32_e32 v25, s57
	v_sub_co_u32_e32 v18, vcc, v22, v18
	v_subb_co_u32_e64 v22, s[0:1], v24, v25, vcc
	v_subrev_co_u32_e64 v24, s[0:1], s56, v18
	v_subbrev_co_u32_e64 v22, s[0:1], 0, v22, s[0:1]
	v_cmp_le_u32_e64 s[0:1], s57, v22
	v_cndmask_b32_e64 v25, 0, -1, s[0:1]
	v_cmp_le_u32_e64 s[0:1], s56, v24
	v_cndmask_b32_e64 v24, 0, -1, s[0:1]
	v_cmp_eq_u32_e64 s[0:1], s57, v22
	v_cndmask_b32_e64 v22, v25, v24, s[0:1]
	v_add_co_u32_e64 v24, s[0:1], 2, v20
	v_subb_co_u32_e32 v19, vcc, v23, v19, vcc
	v_addc_co_u32_e64 v25, s[0:1], 0, v21, s[0:1]
	v_cmp_le_u32_e32 vcc, s57, v19
	v_add_co_u32_e64 v26, s[0:1], 1, v20
	v_cndmask_b32_e64 v23, 0, -1, vcc
	v_cmp_le_u32_e32 vcc, s56, v18
	v_addc_co_u32_e64 v27, s[0:1], 0, v21, s[0:1]
	v_cndmask_b32_e64 v18, 0, -1, vcc
	v_cmp_eq_u32_e32 vcc, s57, v19
	v_cmp_ne_u32_e64 s[0:1], 0, v22
	v_cndmask_b32_e32 v18, v23, v18, vcc
	v_cmp_ne_u32_e32 vcc, 0, v18
	v_cndmask_b32_e64 v19, v26, v24, s[0:1]
	v_cndmask_b32_e64 v22, v27, v25, s[0:1]
	v_cndmask_b32_e32 v19, v20, v19, vcc
	v_cndmask_b32_e32 v18, v21, v22, vcc
	v_xor_b32_e32 v19, v19, v3
	v_xor_b32_e32 v18, v18, v3
	v_sub_co_u32_e32 v22, vcc, v19, v3
	v_subb_co_u32_e32 v23, vcc, v18, v3, vcc
                                        ; implicit-def: $vgpr18
.LBB5_28:                               ;   in Loop: Header=BB5_4 Depth=1
	s_andn2_saveexec_b64 s[0:1], s[2:3]
	s_cbranch_execz .LBB5_30
; %bb.29:                               ;   in Loop: Header=BB5_4 Depth=1
	v_cvt_f32_u32_e32 v3, s42
	s_sub_i32 s2, 0, s42
	v_mov_b32_e32 v23, v2
	v_rcp_iflag_f32_e32 v3, v3
	v_mul_f32_e32 v3, 0x4f7ffffe, v3
	v_cvt_u32_f32_e32 v3, v3
	v_mul_lo_u32 v19, s2, v3
	v_mul_hi_u32 v19, v3, v19
	v_add_u32_e32 v3, v3, v19
	v_mul_hi_u32 v3, v18, v3
	v_mul_lo_u32 v19, v3, s42
	v_add_u32_e32 v20, 1, v3
	v_sub_u32_e32 v18, v18, v19
	v_subrev_u32_e32 v19, s42, v18
	v_cmp_le_u32_e32 vcc, s42, v18
	v_cndmask_b32_e32 v18, v18, v19, vcc
	v_cndmask_b32_e32 v3, v3, v20, vcc
	v_add_u32_e32 v19, 1, v3
	v_cmp_le_u32_e32 vcc, s42, v18
	v_cndmask_b32_e32 v22, v3, v19, vcc
.LBB5_30:                               ;   in Loop: Header=BB5_4 Depth=1
	s_or_b64 exec, exec, s[0:1]
	v_mov_b32_e32 v3, s37
	v_add_co_u32_e32 v12, vcc, s36, v12
	v_addc_co_u32_e32 v13, vcc, v13, v3, vcc
	v_cmp_lt_i64_e32 vcc, s[28:29], v[12:13]
	v_mov_b32_e32 v18, 0
	v_mov_b32_e32 v19, 0
	s_and_saveexec_b64 s[2:3], vcc
	s_cbranch_execz .LBB5_36
; %bb.31:                               ;   in Loop: Header=BB5_4 Depth=1
	v_mov_b32_e32 v3, s31
	v_add_co_u32_e32 v20, vcc, s30, v12
	v_addc_co_u32_e32 v21, vcc, v13, v3, vcc
	v_or_b32_e32 v3, s41, v21
	v_cmp_ne_u64_e32 vcc, 0, v[2:3]
                                        ; implicit-def: $vgpr18_vgpr19
	s_and_saveexec_b64 s[0:1], vcc
	s_xor_b64 s[4:5], exec, s[0:1]
	s_cbranch_execz .LBB5_33
; %bb.32:                               ;   in Loop: Header=BB5_4 Depth=1
	s_ashr_i32 s56, s41, 31
	s_add_u32 s0, s40, s56
	s_mov_b32 s57, s56
	s_addc_u32 s1, s41, s56
	s_xor_b64 s[58:59], s[0:1], s[56:57]
	v_cvt_f32_u32_e32 v3, s58
	v_cvt_f32_u32_e32 v18, s59
	s_sub_u32 s57, 0, s58
	s_subb_u32 s60, 0, s59
	v_mac_f32_e32 v3, 0x4f800000, v18
	v_rcp_f32_e32 v3, v3
	v_mul_f32_e32 v3, 0x5f7ffffc, v3
	v_mul_f32_e32 v18, 0x2f800000, v3
	v_trunc_f32_e32 v18, v18
	v_mac_f32_e32 v3, 0xcf800000, v18
	v_cvt_u32_f32_e32 v18, v18
	v_cvt_u32_f32_e32 v3, v3
	v_readfirstlane_b32 s61, v18
	v_readfirstlane_b32 s0, v3
	s_mul_i32 s1, s57, s61
	s_mul_hi_u32 s63, s57, s0
	s_mul_i32 s62, s60, s0
	s_add_i32 s1, s63, s1
	s_add_i32 s1, s1, s62
	s_mul_i32 s64, s57, s0
	s_mul_i32 s63, s0, s1
	s_mul_hi_u32 s65, s0, s64
	s_mul_hi_u32 s62, s0, s1
	s_add_u32 s63, s65, s63
	s_addc_u32 s62, 0, s62
	s_mul_hi_u32 s66, s61, s64
	s_mul_i32 s64, s61, s64
	s_add_u32 s63, s63, s64
	s_mul_hi_u32 s65, s61, s1
	s_addc_u32 s62, s62, s66
	s_addc_u32 s63, s65, 0
	s_mul_i32 s1, s61, s1
	s_add_u32 s1, s62, s1
	s_addc_u32 s62, 0, s63
	s_add_u32 s63, s0, s1
	s_cselect_b64 s[0:1], -1, 0
	s_cmp_lg_u64 s[0:1], 0
	s_addc_u32 s61, s61, s62
	s_mul_i32 s0, s57, s61
	s_mul_hi_u32 s1, s57, s63
	s_add_i32 s0, s1, s0
	s_mul_i32 s60, s60, s63
	s_add_i32 s0, s0, s60
	s_mul_i32 s57, s57, s63
	s_mul_hi_u32 s60, s61, s57
	s_mul_i32 s62, s61, s57
	s_mul_i32 s65, s63, s0
	s_mul_hi_u32 s57, s63, s57
	s_mul_hi_u32 s64, s63, s0
	s_add_u32 s57, s57, s65
	s_addc_u32 s64, 0, s64
	s_add_u32 s57, s57, s62
	s_mul_hi_u32 s1, s61, s0
	s_addc_u32 s57, s64, s60
	s_addc_u32 s1, s1, 0
	s_mul_i32 s0, s61, s0
	s_add_u32 s0, s57, s0
	s_addc_u32 s57, 0, s1
	s_add_u32 s60, s63, s0
	s_cselect_b64 s[0:1], -1, 0
	v_ashrrev_i32_e32 v3, 31, v21
	s_cmp_lg_u64 s[0:1], 0
	v_add_co_u32_e32 v18, vcc, v20, v3
	s_addc_u32 s57, s61, s57
	v_xor_b32_e32 v24, v18, v3
	v_addc_co_u32_e32 v20, vcc, v21, v3, vcc
	v_mad_u64_u32 v[18:19], s[0:1], v24, s57, 0
	v_mul_hi_u32 v21, v24, s60
	v_xor_b32_e32 v25, v20, v3
	v_xor_b32_e32 v3, s56, v3
	v_add_co_u32_e32 v26, vcc, v21, v18
	v_addc_co_u32_e32 v27, vcc, 0, v19, vcc
	v_mad_u64_u32 v[18:19], s[0:1], v25, s60, 0
	v_mad_u64_u32 v[20:21], s[0:1], v25, s57, 0
	v_add_co_u32_e32 v18, vcc, v26, v18
	v_addc_co_u32_e32 v18, vcc, v27, v19, vcc
	v_addc_co_u32_e32 v19, vcc, 0, v21, vcc
	v_add_co_u32_e32 v20, vcc, v18, v20
	v_addc_co_u32_e32 v21, vcc, 0, v19, vcc
	v_mul_lo_u32 v26, s59, v20
	v_mul_lo_u32 v27, s58, v21
	v_mad_u64_u32 v[18:19], s[0:1], s58, v20, 0
	v_add3_u32 v19, v19, v27, v26
	v_sub_u32_e32 v26, v25, v19
	v_mov_b32_e32 v27, s59
	v_sub_co_u32_e32 v18, vcc, v24, v18
	v_subb_co_u32_e64 v24, s[0:1], v26, v27, vcc
	v_subrev_co_u32_e64 v26, s[0:1], s58, v18
	v_subbrev_co_u32_e64 v24, s[0:1], 0, v24, s[0:1]
	v_cmp_le_u32_e64 s[0:1], s59, v24
	v_cndmask_b32_e64 v27, 0, -1, s[0:1]
	v_cmp_le_u32_e64 s[0:1], s58, v26
	v_cndmask_b32_e64 v26, 0, -1, s[0:1]
	v_cmp_eq_u32_e64 s[0:1], s59, v24
	v_cndmask_b32_e64 v24, v27, v26, s[0:1]
	v_add_co_u32_e64 v26, s[0:1], 2, v20
	v_subb_co_u32_e32 v19, vcc, v25, v19, vcc
	v_addc_co_u32_e64 v27, s[0:1], 0, v21, s[0:1]
	v_cmp_le_u32_e32 vcc, s59, v19
	v_add_co_u32_e64 v28, s[0:1], 1, v20
	v_cndmask_b32_e64 v25, 0, -1, vcc
	v_cmp_le_u32_e32 vcc, s58, v18
	v_addc_co_u32_e64 v29, s[0:1], 0, v21, s[0:1]
	v_cndmask_b32_e64 v18, 0, -1, vcc
	v_cmp_eq_u32_e32 vcc, s59, v19
	v_cmp_ne_u32_e64 s[0:1], 0, v24
	v_cndmask_b32_e32 v18, v25, v18, vcc
	v_cndmask_b32_e64 v24, v29, v27, s[0:1]
	v_cmp_ne_u32_e32 vcc, 0, v18
	v_cndmask_b32_e64 v19, v28, v26, s[0:1]
	v_cndmask_b32_e32 v18, v21, v24, vcc
	v_cndmask_b32_e32 v19, v20, v19, vcc
	v_xor_b32_e32 v20, v18, v3
	v_xor_b32_e32 v18, v19, v3
	v_sub_co_u32_e32 v18, vcc, v18, v3
	v_subb_co_u32_e32 v19, vcc, v20, v3, vcc
                                        ; implicit-def: $vgpr20
.LBB5_33:                               ;   in Loop: Header=BB5_4 Depth=1
	s_andn2_saveexec_b64 s[0:1], s[4:5]
	s_cbranch_execz .LBB5_35
; %bb.34:                               ;   in Loop: Header=BB5_4 Depth=1
	v_cvt_f32_u32_e32 v3, s40
	s_sub_i32 s4, 0, s40
	v_rcp_iflag_f32_e32 v3, v3
	v_mul_f32_e32 v3, 0x4f7ffffe, v3
	v_cvt_u32_f32_e32 v3, v3
	v_mul_lo_u32 v18, s4, v3
	v_mul_hi_u32 v18, v3, v18
	v_add_u32_e32 v3, v3, v18
	v_mul_hi_u32 v3, v20, v3
	v_mul_lo_u32 v18, v3, s40
	v_add_u32_e32 v19, 1, v3
	v_sub_u32_e32 v18, v20, v18
	v_subrev_u32_e32 v20, s40, v18
	v_cmp_le_u32_e32 vcc, s40, v18
	v_cndmask_b32_e32 v18, v18, v20, vcc
	v_cndmask_b32_e32 v3, v3, v19, vcc
	v_add_u32_e32 v19, 1, v3
	v_cmp_le_u32_e32 vcc, s40, v18
	v_cndmask_b32_e32 v18, v3, v19, vcc
	v_mov_b32_e32 v19, v2
.LBB5_35:                               ;   in Loop: Header=BB5_4 Depth=1
	s_or_b64 exec, exec, s[0:1]
	v_add_co_u32_e32 v18, vcc, 1, v18
	v_addc_co_u32_e32 v19, vcc, 0, v19, vcc
.LBB5_36:                               ;   in Loop: Header=BB5_4 Depth=1
	s_or_b64 exec, exec, s[2:3]
	v_or_b32_e32 v3, s41, v13
	v_cmp_ne_u64_e32 vcc, 0, v[2:3]
                                        ; implicit-def: $vgpr20_vgpr21
	s_and_saveexec_b64 s[0:1], vcc
	s_xor_b64 s[2:3], exec, s[0:1]
	s_cbranch_execz .LBB5_38
; %bb.37:                               ;   in Loop: Header=BB5_4 Depth=1
	s_ashr_i32 s4, s41, 31
	s_add_u32 s0, s40, s4
	s_mov_b32 s5, s4
	s_addc_u32 s1, s41, s4
	s_xor_b64 s[56:57], s[0:1], s[4:5]
	v_cvt_f32_u32_e32 v3, s56
	v_cvt_f32_u32_e32 v20, s57
	s_sub_u32 s5, 0, s56
	s_subb_u32 s58, 0, s57
	v_mac_f32_e32 v3, 0x4f800000, v20
	v_rcp_f32_e32 v3, v3
	v_mul_f32_e32 v3, 0x5f7ffffc, v3
	v_mul_f32_e32 v20, 0x2f800000, v3
	v_trunc_f32_e32 v20, v20
	v_mac_f32_e32 v3, 0xcf800000, v20
	v_cvt_u32_f32_e32 v20, v20
	v_cvt_u32_f32_e32 v3, v3
	v_readfirstlane_b32 s59, v20
	v_readfirstlane_b32 s0, v3
	s_mul_i32 s1, s5, s59
	s_mul_hi_u32 s61, s5, s0
	s_mul_i32 s60, s58, s0
	s_add_i32 s1, s61, s1
	s_add_i32 s1, s1, s60
	s_mul_i32 s62, s5, s0
	s_mul_i32 s61, s0, s1
	s_mul_hi_u32 s63, s0, s62
	s_mul_hi_u32 s60, s0, s1
	s_add_u32 s61, s63, s61
	s_addc_u32 s60, 0, s60
	s_mul_hi_u32 s64, s59, s62
	s_mul_i32 s62, s59, s62
	s_add_u32 s61, s61, s62
	s_mul_hi_u32 s63, s59, s1
	s_addc_u32 s60, s60, s64
	s_addc_u32 s61, s63, 0
	s_mul_i32 s1, s59, s1
	s_add_u32 s1, s60, s1
	s_addc_u32 s60, 0, s61
	s_add_u32 s61, s0, s1
	s_cselect_b64 s[0:1], -1, 0
	s_cmp_lg_u64 s[0:1], 0
	s_addc_u32 s59, s59, s60
	s_mul_i32 s0, s5, s59
	s_mul_hi_u32 s1, s5, s61
	s_add_i32 s0, s1, s0
	s_mul_i32 s58, s58, s61
	s_add_i32 s0, s0, s58
	s_mul_i32 s5, s5, s61
	s_mul_hi_u32 s58, s59, s5
	s_mul_i32 s60, s59, s5
	s_mul_i32 s63, s61, s0
	s_mul_hi_u32 s5, s61, s5
	s_mul_hi_u32 s62, s61, s0
	s_add_u32 s5, s5, s63
	s_addc_u32 s62, 0, s62
	s_add_u32 s5, s5, s60
	s_mul_hi_u32 s1, s59, s0
	s_addc_u32 s5, s62, s58
	s_addc_u32 s1, s1, 0
	s_mul_i32 s0, s59, s0
	s_add_u32 s0, s5, s0
	s_addc_u32 s5, 0, s1
	s_add_u32 s58, s61, s0
	s_cselect_b64 s[0:1], -1, 0
	v_ashrrev_i32_e32 v3, 31, v13
	s_cmp_lg_u64 s[0:1], 0
	v_add_co_u32_e32 v20, vcc, v12, v3
	s_addc_u32 s5, s59, s5
	v_xor_b32_e32 v26, v20, v3
	v_mad_u64_u32 v[20:21], s[0:1], v26, s5, 0
	v_mul_hi_u32 v25, v26, s58
	v_addc_co_u32_e32 v24, vcc, v13, v3, vcc
	v_xor_b32_e32 v27, v24, v3
	v_add_co_u32_e32 v28, vcc, v25, v20
	v_addc_co_u32_e32 v29, vcc, 0, v21, vcc
	v_mad_u64_u32 v[20:21], s[0:1], v27, s58, 0
	v_mad_u64_u32 v[24:25], s[0:1], v27, s5, 0
	v_add_co_u32_e32 v20, vcc, v28, v20
	v_addc_co_u32_e32 v20, vcc, v29, v21, vcc
	v_addc_co_u32_e32 v21, vcc, 0, v25, vcc
	v_add_co_u32_e32 v24, vcc, v20, v24
	v_addc_co_u32_e32 v25, vcc, 0, v21, vcc
	v_mul_lo_u32 v28, s57, v24
	v_mul_lo_u32 v29, s56, v25
	v_mad_u64_u32 v[20:21], s[0:1], s56, v24, 0
	v_xor_b32_e32 v3, s4, v3
	v_add3_u32 v21, v21, v29, v28
	v_sub_u32_e32 v28, v27, v21
	v_mov_b32_e32 v29, s57
	v_sub_co_u32_e32 v20, vcc, v26, v20
	v_subb_co_u32_e64 v26, s[0:1], v28, v29, vcc
	v_subrev_co_u32_e64 v28, s[0:1], s56, v20
	v_subbrev_co_u32_e64 v26, s[0:1], 0, v26, s[0:1]
	v_cmp_le_u32_e64 s[0:1], s57, v26
	v_cndmask_b32_e64 v29, 0, -1, s[0:1]
	v_cmp_le_u32_e64 s[0:1], s56, v28
	v_cndmask_b32_e64 v28, 0, -1, s[0:1]
	v_cmp_eq_u32_e64 s[0:1], s57, v26
	v_cndmask_b32_e64 v26, v29, v28, s[0:1]
	v_add_co_u32_e64 v28, s[0:1], 2, v24
	v_subb_co_u32_e32 v21, vcc, v27, v21, vcc
	v_addc_co_u32_e64 v29, s[0:1], 0, v25, s[0:1]
	v_cmp_le_u32_e32 vcc, s57, v21
	v_add_co_u32_e64 v30, s[0:1], 1, v24
	v_cndmask_b32_e64 v27, 0, -1, vcc
	v_cmp_le_u32_e32 vcc, s56, v20
	v_addc_co_u32_e64 v31, s[0:1], 0, v25, s[0:1]
	v_cndmask_b32_e64 v20, 0, -1, vcc
	v_cmp_eq_u32_e32 vcc, s57, v21
	v_cmp_ne_u32_e64 s[0:1], 0, v26
	v_cndmask_b32_e32 v20, v27, v20, vcc
	v_cndmask_b32_e64 v26, v31, v29, s[0:1]
	v_cmp_ne_u32_e32 vcc, 0, v20
	v_cndmask_b32_e64 v21, v30, v28, s[0:1]
	v_cndmask_b32_e32 v20, v25, v26, vcc
	v_cndmask_b32_e32 v21, v24, v21, vcc
	v_xor_b32_e32 v24, v20, v3
	v_xor_b32_e32 v20, v21, v3
	v_sub_co_u32_e32 v20, vcc, v20, v3
	v_subb_co_u32_e32 v21, vcc, v24, v3, vcc
.LBB5_38:                               ;   in Loop: Header=BB5_4 Depth=1
	s_andn2_saveexec_b64 s[0:1], s[2:3]
	s_cbranch_execz .LBB5_40
; %bb.39:                               ;   in Loop: Header=BB5_4 Depth=1
	v_cvt_f32_u32_e32 v3, s40
	s_sub_i32 s2, 0, s40
	v_rcp_iflag_f32_e32 v3, v3
	v_mul_f32_e32 v3, 0x4f7ffffe, v3
	v_cvt_u32_f32_e32 v3, v3
	v_mul_lo_u32 v20, s2, v3
	v_mul_hi_u32 v20, v3, v20
	v_add_u32_e32 v3, v3, v20
	v_mul_hi_u32 v3, v12, v3
	v_mul_lo_u32 v20, v3, s40
	v_add_u32_e32 v21, 1, v3
	v_sub_u32_e32 v20, v12, v20
	v_subrev_u32_e32 v24, s40, v20
	v_cmp_le_u32_e32 vcc, s40, v20
	v_cndmask_b32_e32 v20, v20, v24, vcc
	v_cndmask_b32_e32 v3, v3, v21, vcc
	v_add_u32_e32 v21, 1, v3
	v_cmp_le_u32_e32 vcc, s40, v20
	v_cndmask_b32_e32 v20, v3, v21, vcc
	v_mov_b32_e32 v21, v2
.LBB5_40:                               ;   in Loop: Header=BB5_4 Depth=1
	s_or_b64 exec, exec, s[0:1]
	v_add_co_u32_e32 v20, vcc, 1, v20
	v_addc_co_u32_e32 v21, vcc, 0, v21, vcc
	v_cmp_gt_i64_e32 vcc, s[48:49], v[20:21]
	v_mov_b32_e32 v3, s49
	v_cndmask_b32_e32 v21, v3, v21, vcc
	v_mov_b32_e32 v3, s48
	v_cndmask_b32_e32 v20, v3, v20, vcc
	v_cmp_lt_i64_e32 vcc, v[18:19], v[20:21]
	v_mov_b32_e32 v35, 0
	s_and_saveexec_b64 s[56:57], vcc
	s_cbranch_execz .LBB5_3
; %bb.41:                               ;   in Loop: Header=BB5_4 Depth=1
	v_lshlrev_b64 v[24:25], 1, v[10:11]
	v_add_co_u32_e32 v22, vcc, 1, v22
	v_addc_co_u32_e32 v23, vcc, 0, v23, vcc
	v_mul_lo_u32 v26, v15, s20
	v_mul_lo_u32 v27, v14, s21
	v_mad_u64_u32 v[14:15], s[0:1], v14, s20, 0
	v_mul_lo_u32 v28, s12, v5
	v_mul_lo_u32 v29, s13, v4
	v_mad_u64_u32 v[24:25], s[0:1], s12, v4, v[24:25]
	v_cmp_gt_i64_e32 vcc, s[50:51], v[22:23]
	v_mov_b32_e32 v3, s51
	v_cndmask_b32_e32 v23, v3, v23, vcc
	v_mov_b32_e32 v3, s50
	v_cndmask_b32_e32 v22, v3, v22, vcc
	v_add3_u32 v15, v15, v27, v26
	v_add3_u32 v3, v29, v25, v28
	v_mov_b32_e32 v25, s11
	v_add_co_u32_e32 v24, vcc, s10, v24
	v_mul_lo_u32 v28, s43, v10
	v_mul_lo_u32 v29, s42, v11
	v_mad_u64_u32 v[26:27], s[2:3], s42, v10, 0
	v_addc_co_u32_e32 v25, vcc, v25, v3, vcc
	v_mov_b32_e32 v3, s39
	v_add_co_u32_e32 v30, vcc, s38, v0
	v_addc_co_u32_e32 v3, vcc, v3, v1, vcc
	v_add3_u32 v27, v27, v29, v28
	v_sub_co_u32_e32 v26, vcc, v30, v26
	v_subb_co_u32_e32 v3, vcc, v3, v27, vcc
	v_sub_co_u32_e32 v16, vcc, v26, v16
	v_subb_co_u32_e32 v3, vcc, v3, v17, vcc
	v_cmp_lt_i64_e64 s[0:1], v[10:11], v[22:23]
	v_sub_co_u32_e32 v8, vcc, v16, v8
	v_subb_co_u32_e32 v9, vcc, v3, v9, vcc
	v_mov_b32_e32 v35, 0
	s_mov_b64 s[58:59], 0
	s_branch .LBB5_44
.LBB5_42:                               ;   in Loop: Header=BB5_44 Depth=2
	s_or_b64 exec, exec, s[62:63]
.LBB5_43:                               ;   in Loop: Header=BB5_44 Depth=2
	s_or_b64 exec, exec, s[60:61]
	v_add_co_u32_e32 v18, vcc, 1, v18
	v_addc_co_u32_e32 v19, vcc, 0, v19, vcc
	v_cmp_ge_i64_e32 vcc, v[18:19], v[20:21]
	s_or_b64 s[58:59], vcc, s[58:59]
	s_andn2_b64 exec, exec, s[58:59]
	s_cbranch_execz .LBB5_2
.LBB5_44:                               ;   Parent Loop BB5_4 Depth=1
                                        ; =>  This Loop Header: Depth=2
                                        ;       Child Loop BB5_52 Depth 3
	s_and_saveexec_b64 s[60:61], s[0:1]
	s_cbranch_execz .LBB5_43
; %bb.45:                               ;   in Loop: Header=BB5_44 Depth=2
	v_mul_lo_u32 v3, v19, s40
	v_mul_lo_u32 v26, v18, s41
	v_mad_u64_u32 v[16:17], s[2:3], v18, s40, 0
	v_add3_u32 v3, v17, v26, v3
	v_sub_co_u32_e32 v26, vcc, v12, v16
	v_subb_co_u32_e32 v27, vcc, v13, v3, vcc
	v_or_b32_e32 v3, s45, v27
	v_cmp_ne_u64_e32 vcc, 0, v[2:3]
                                        ; implicit-def: $vgpr16_vgpr17
	s_and_saveexec_b64 s[2:3], vcc
	s_xor_b64 s[4:5], exec, s[2:3]
	s_cbranch_execz .LBB5_47
; %bb.46:                               ;   in Loop: Header=BB5_44 Depth=2
	s_ashr_i32 s62, s45, 31
	s_add_u32 s2, s44, s62
	s_mov_b32 s63, s62
	s_addc_u32 s3, s45, s62
	s_xor_b64 s[64:65], s[2:3], s[62:63]
	v_cvt_f32_u32_e32 v3, s64
	v_cvt_f32_u32_e32 v16, s65
	s_sub_u32 s63, 0, s64
	s_subb_u32 s66, 0, s65
	v_mac_f32_e32 v3, 0x4f800000, v16
	v_rcp_f32_e32 v3, v3
	v_mul_f32_e32 v3, 0x5f7ffffc, v3
	v_mul_f32_e32 v16, 0x2f800000, v3
	v_trunc_f32_e32 v16, v16
	v_mac_f32_e32 v3, 0xcf800000, v16
	v_cvt_u32_f32_e32 v16, v16
	v_cvt_u32_f32_e32 v3, v3
	v_readfirstlane_b32 s67, v16
	v_readfirstlane_b32 s2, v3
	s_mul_i32 s3, s63, s67
	s_mul_hi_u32 s69, s63, s2
	s_mul_i32 s68, s66, s2
	s_add_i32 s3, s69, s3
	s_add_i32 s3, s3, s68
	s_mul_i32 s70, s63, s2
	s_mul_i32 s69, s2, s3
	s_mul_hi_u32 s71, s2, s70
	s_mul_hi_u32 s68, s2, s3
	s_add_u32 s69, s71, s69
	s_addc_u32 s68, 0, s68
	s_mul_hi_u32 s75, s67, s70
	s_mul_i32 s70, s67, s70
	s_add_u32 s69, s69, s70
	s_mul_hi_u32 s71, s67, s3
	s_addc_u32 s68, s68, s75
	s_addc_u32 s69, s71, 0
	s_mul_i32 s3, s67, s3
	s_add_u32 s3, s68, s3
	s_addc_u32 s68, 0, s69
	s_add_u32 s69, s2, s3
	s_cselect_b64 s[2:3], -1, 0
	s_cmp_lg_u64 s[2:3], 0
	s_addc_u32 s67, s67, s68
	s_mul_i32 s2, s63, s67
	s_mul_hi_u32 s3, s63, s69
	s_add_i32 s2, s3, s2
	s_mul_i32 s66, s66, s69
	s_add_i32 s2, s2, s66
	s_mul_i32 s63, s63, s69
	s_mul_hi_u32 s66, s67, s63
	s_mul_i32 s68, s67, s63
	s_mul_i32 s71, s69, s2
	s_mul_hi_u32 s63, s69, s63
	s_mul_hi_u32 s70, s69, s2
	s_add_u32 s63, s63, s71
	s_addc_u32 s70, 0, s70
	s_add_u32 s63, s63, s68
	s_mul_hi_u32 s3, s67, s2
	s_addc_u32 s63, s70, s66
	s_addc_u32 s3, s3, 0
	s_mul_i32 s2, s67, s2
	s_add_u32 s2, s63, s2
	s_addc_u32 s63, 0, s3
	s_add_u32 s66, s69, s2
	s_cselect_b64 s[2:3], -1, 0
	v_ashrrev_i32_e32 v3, 31, v27
	s_cmp_lg_u64 s[2:3], 0
	v_add_co_u32_e32 v16, vcc, v26, v3
	s_addc_u32 s63, s67, s63
	v_xor_b32_e32 v30, v16, v3
	v_mad_u64_u32 v[16:17], s[2:3], v30, s63, 0
	v_mul_hi_u32 v29, v30, s66
	v_addc_co_u32_e32 v28, vcc, v27, v3, vcc
	v_xor_b32_e32 v31, v28, v3
	v_add_co_u32_e32 v32, vcc, v29, v16
	v_addc_co_u32_e32 v33, vcc, 0, v17, vcc
	v_mad_u64_u32 v[16:17], s[2:3], v31, s66, 0
	v_mad_u64_u32 v[28:29], s[2:3], v31, s63, 0
	v_add_co_u32_e32 v16, vcc, v32, v16
	v_addc_co_u32_e32 v16, vcc, v33, v17, vcc
	v_addc_co_u32_e32 v17, vcc, 0, v29, vcc
	v_add_co_u32_e32 v28, vcc, v16, v28
	v_addc_co_u32_e32 v29, vcc, 0, v17, vcc
	v_mul_lo_u32 v32, s65, v28
	v_mul_lo_u32 v33, s64, v29
	v_mad_u64_u32 v[16:17], s[2:3], s64, v28, 0
	v_xor_b32_e32 v3, s62, v3
	v_add3_u32 v17, v17, v33, v32
	v_sub_u32_e32 v32, v31, v17
	v_mov_b32_e32 v33, s65
	v_sub_co_u32_e32 v16, vcc, v30, v16
	v_subb_co_u32_e64 v30, s[2:3], v32, v33, vcc
	v_subrev_co_u32_e64 v32, s[2:3], s64, v16
	v_subbrev_co_u32_e64 v30, s[2:3], 0, v30, s[2:3]
	v_cmp_le_u32_e64 s[2:3], s65, v30
	v_cndmask_b32_e64 v33, 0, -1, s[2:3]
	v_cmp_le_u32_e64 s[2:3], s64, v32
	v_cndmask_b32_e64 v32, 0, -1, s[2:3]
	v_cmp_eq_u32_e64 s[2:3], s65, v30
	v_cndmask_b32_e64 v30, v33, v32, s[2:3]
	v_add_co_u32_e64 v32, s[2:3], 2, v28
	v_subb_co_u32_e32 v17, vcc, v31, v17, vcc
	v_addc_co_u32_e64 v33, s[2:3], 0, v29, s[2:3]
	v_cmp_le_u32_e32 vcc, s65, v17
	v_add_co_u32_e64 v36, s[2:3], 1, v28
	v_cndmask_b32_e64 v31, 0, -1, vcc
	v_cmp_le_u32_e32 vcc, s64, v16
	v_addc_co_u32_e64 v37, s[2:3], 0, v29, s[2:3]
	v_cndmask_b32_e64 v16, 0, -1, vcc
	v_cmp_eq_u32_e32 vcc, s65, v17
	v_cmp_ne_u32_e64 s[2:3], 0, v30
	v_cndmask_b32_e32 v16, v31, v16, vcc
	v_cndmask_b32_e64 v30, v37, v33, s[2:3]
	v_cmp_ne_u32_e32 vcc, 0, v16
	v_cndmask_b32_e64 v17, v36, v32, s[2:3]
	v_cndmask_b32_e32 v16, v29, v30, vcc
	v_cndmask_b32_e32 v17, v28, v17, vcc
	v_xor_b32_e32 v28, v16, v3
	v_xor_b32_e32 v16, v17, v3
	v_sub_co_u32_e32 v16, vcc, v16, v3
	v_subb_co_u32_e32 v17, vcc, v28, v3, vcc
.LBB5_47:                               ;   in Loop: Header=BB5_44 Depth=2
	s_andn2_saveexec_b64 s[2:3], s[4:5]
	s_cbranch_execz .LBB5_49
; %bb.48:                               ;   in Loop: Header=BB5_44 Depth=2
	v_cvt_f32_u32_e32 v3, s44
	s_sub_i32 s4, 0, s44
	v_rcp_iflag_f32_e32 v3, v3
	v_mul_f32_e32 v3, 0x4f7ffffe, v3
	v_cvt_u32_f32_e32 v3, v3
	v_mul_lo_u32 v16, s4, v3
	v_mul_hi_u32 v16, v3, v16
	v_add_u32_e32 v3, v3, v16
	v_mul_hi_u32 v3, v26, v3
	v_mul_lo_u32 v16, v3, s44
	v_add_u32_e32 v17, 1, v3
	v_sub_u32_e32 v16, v26, v16
	v_subrev_u32_e32 v28, s44, v16
	v_cmp_le_u32_e32 vcc, s44, v16
	v_cndmask_b32_e32 v16, v16, v28, vcc
	v_cndmask_b32_e32 v3, v3, v17, vcc
	v_add_u32_e32 v17, 1, v3
	v_cmp_le_u32_e32 vcc, s44, v16
	v_cndmask_b32_e32 v16, v3, v17, vcc
	v_mov_b32_e32 v17, v2
.LBB5_49:                               ;   in Loop: Header=BB5_44 Depth=2
	s_or_b64 exec, exec, s[2:3]
	v_mul_lo_u32 v3, v17, s44
	v_mul_lo_u32 v30, v16, s45
	v_mad_u64_u32 v[28:29], s[2:3], v16, s44, 0
	v_add_co_u32_e32 v16, vcc, v16, v14
	v_addc_co_u32_e32 v17, vcc, v17, v15, vcc
	v_add3_u32 v3, v29, v30, v3
	v_mul_lo_u32 v29, v17, s22
	v_mul_lo_u32 v30, v16, s23
	v_mad_u64_u32 v[16:17], s[2:3], v16, s22, 0
	v_sub_co_u32_e32 v26, vcc, v26, v28
	v_subb_co_u32_e32 v27, vcc, v27, v3, vcc
	v_cmp_eq_u64_e64 s[2:3], 0, v[26:27]
	v_add3_u32 v17, v17, v30, v29
	v_mov_b32_e32 v27, v9
	v_mov_b32_e32 v29, v25
	;; [unrolled: 1-line block ×3, first 2 shown]
	s_mov_b64 s[62:63], 0
	v_mov_b32_e32 v26, v8
	v_mov_b32_e32 v28, v24
	;; [unrolled: 1-line block ×3, first 2 shown]
	s_branch .LBB5_52
.LBB5_50:                               ;   in Loop: Header=BB5_52 Depth=3
	s_or_b64 exec, exec, s[4:5]
.LBB5_51:                               ;   in Loop: Header=BB5_52 Depth=3
	s_or_b64 exec, exec, s[64:65]
	v_add_co_u32_e32 v30, vcc, 1, v30
	v_addc_co_u32_e32 v31, vcc, 0, v31, vcc
	v_add_co_u32_e32 v28, vcc, 2, v28
	v_addc_co_u32_e32 v29, vcc, 0, v29, vcc
	v_cmp_ge_i64_e32 vcc, v[30:31], v[22:23]
	v_mov_b32_e32 v3, s43
	s_or_b64 s[62:63], vcc, s[62:63]
	v_subrev_co_u32_e32 v26, vcc, s42, v26
	v_subb_co_u32_e32 v27, vcc, v27, v3, vcc
	s_andn2_b64 exec, exec, s[62:63]
	s_cbranch_execz .LBB5_42
.LBB5_52:                               ;   Parent Loop BB5_4 Depth=1
                                        ;     Parent Loop BB5_44 Depth=2
                                        ; =>    This Inner Loop Header: Depth=3
	s_and_saveexec_b64 s[64:65], s[2:3]
	s_cbranch_execz .LBB5_51
; %bb.53:                               ;   in Loop: Header=BB5_52 Depth=3
	v_or_b32_e32 v3, s47, v27
	v_cmp_ne_u64_e32 vcc, 0, v[2:3]
                                        ; implicit-def: $vgpr32_vgpr33
	s_and_saveexec_b64 s[4:5], vcc
	s_xor_b64 s[66:67], exec, s[4:5]
	s_cbranch_execz .LBB5_55
; %bb.54:                               ;   in Loop: Header=BB5_52 Depth=3
	s_ashr_i32 s68, s47, 31
	s_add_u32 s4, s46, s68
	s_mov_b32 s69, s68
	s_addc_u32 s5, s47, s68
	s_xor_b64 s[70:71], s[4:5], s[68:69]
	v_cvt_f32_u32_e32 v3, s70
	v_cvt_f32_u32_e32 v32, s71
	s_sub_u32 s69, 0, s70
	s_subb_u32 s75, 0, s71
	v_mac_f32_e32 v3, 0x4f800000, v32
	v_rcp_f32_e32 v3, v3
	v_mul_f32_e32 v3, 0x5f7ffffc, v3
	v_mul_f32_e32 v32, 0x2f800000, v3
	v_trunc_f32_e32 v32, v32
	v_mac_f32_e32 v3, 0xcf800000, v32
	v_cvt_u32_f32_e32 v32, v32
	v_cvt_u32_f32_e32 v3, v3
	v_readfirstlane_b32 s76, v32
	v_readfirstlane_b32 s4, v3
	s_mul_i32 s5, s69, s76
	s_mul_hi_u32 s78, s69, s4
	s_mul_i32 s77, s75, s4
	s_add_i32 s5, s78, s5
	s_add_i32 s5, s5, s77
	s_mul_i32 s79, s69, s4
	s_mul_i32 s78, s4, s5
	s_mul_hi_u32 s80, s4, s79
	s_mul_hi_u32 s77, s4, s5
	s_add_u32 s78, s80, s78
	s_addc_u32 s77, 0, s77
	s_mul_hi_u32 s81, s76, s79
	s_mul_i32 s79, s76, s79
	s_add_u32 s78, s78, s79
	s_mul_hi_u32 s80, s76, s5
	s_addc_u32 s77, s77, s81
	s_addc_u32 s78, s80, 0
	s_mul_i32 s5, s76, s5
	s_add_u32 s5, s77, s5
	s_addc_u32 s77, 0, s78
	s_add_u32 s78, s4, s5
	s_cselect_b64 s[4:5], -1, 0
	s_cmp_lg_u64 s[4:5], 0
	s_addc_u32 s76, s76, s77
	s_mul_i32 s4, s69, s76
	s_mul_hi_u32 s5, s69, s78
	s_add_i32 s4, s5, s4
	s_mul_i32 s75, s75, s78
	s_add_i32 s4, s4, s75
	s_mul_i32 s69, s69, s78
	s_mul_hi_u32 s75, s76, s69
	s_mul_i32 s77, s76, s69
	s_mul_i32 s80, s78, s4
	s_mul_hi_u32 s69, s78, s69
	s_mul_hi_u32 s79, s78, s4
	s_add_u32 s69, s69, s80
	s_addc_u32 s79, 0, s79
	s_add_u32 s69, s69, s77
	s_mul_hi_u32 s5, s76, s4
	s_addc_u32 s69, s79, s75
	s_addc_u32 s5, s5, 0
	s_mul_i32 s4, s76, s4
	s_add_u32 s4, s69, s4
	s_addc_u32 s69, 0, s5
	s_add_u32 s75, s78, s4
	s_cselect_b64 s[4:5], -1, 0
	v_ashrrev_i32_e32 v3, 31, v27
	s_cmp_lg_u64 s[4:5], 0
	v_add_co_u32_e32 v32, vcc, v26, v3
	s_addc_u32 s69, s76, s69
	v_xor_b32_e32 v38, v32, v3
	v_mad_u64_u32 v[32:33], s[4:5], v38, s69, 0
	v_mul_hi_u32 v37, v38, s75
	v_addc_co_u32_e32 v36, vcc, v27, v3, vcc
	v_xor_b32_e32 v39, v36, v3
	v_add_co_u32_e32 v40, vcc, v37, v32
	v_addc_co_u32_e32 v41, vcc, 0, v33, vcc
	v_mad_u64_u32 v[32:33], s[4:5], v39, s75, 0
	v_mad_u64_u32 v[36:37], s[4:5], v39, s69, 0
	v_add_co_u32_e32 v32, vcc, v40, v32
	v_addc_co_u32_e32 v32, vcc, v41, v33, vcc
	v_addc_co_u32_e32 v33, vcc, 0, v37, vcc
	v_add_co_u32_e32 v36, vcc, v32, v36
	v_addc_co_u32_e32 v37, vcc, 0, v33, vcc
	v_mul_lo_u32 v40, s71, v36
	v_mul_lo_u32 v41, s70, v37
	v_mad_u64_u32 v[32:33], s[4:5], s70, v36, 0
	v_xor_b32_e32 v3, s68, v3
	v_add3_u32 v33, v33, v41, v40
	v_sub_u32_e32 v40, v39, v33
	v_mov_b32_e32 v41, s71
	v_sub_co_u32_e32 v32, vcc, v38, v32
	v_subb_co_u32_e64 v38, s[4:5], v40, v41, vcc
	v_subrev_co_u32_e64 v40, s[4:5], s70, v32
	v_subbrev_co_u32_e64 v38, s[4:5], 0, v38, s[4:5]
	v_cmp_le_u32_e64 s[4:5], s71, v38
	v_cndmask_b32_e64 v41, 0, -1, s[4:5]
	v_cmp_le_u32_e64 s[4:5], s70, v40
	v_cndmask_b32_e64 v40, 0, -1, s[4:5]
	v_cmp_eq_u32_e64 s[4:5], s71, v38
	v_cndmask_b32_e64 v38, v41, v40, s[4:5]
	v_add_co_u32_e64 v40, s[4:5], 2, v36
	v_subb_co_u32_e32 v33, vcc, v39, v33, vcc
	v_addc_co_u32_e64 v41, s[4:5], 0, v37, s[4:5]
	v_cmp_le_u32_e32 vcc, s71, v33
	v_add_co_u32_e64 v42, s[4:5], 1, v36
	v_cndmask_b32_e64 v39, 0, -1, vcc
	v_cmp_le_u32_e32 vcc, s70, v32
	v_addc_co_u32_e64 v43, s[4:5], 0, v37, s[4:5]
	v_cndmask_b32_e64 v32, 0, -1, vcc
	v_cmp_eq_u32_e32 vcc, s71, v33
	v_cmp_ne_u32_e64 s[4:5], 0, v38
	v_cndmask_b32_e32 v32, v39, v32, vcc
	v_cndmask_b32_e64 v38, v43, v41, s[4:5]
	v_cmp_ne_u32_e32 vcc, 0, v32
	v_cndmask_b32_e64 v33, v42, v40, s[4:5]
	v_cndmask_b32_e32 v32, v37, v38, vcc
	v_cndmask_b32_e32 v33, v36, v33, vcc
	v_xor_b32_e32 v36, v32, v3
	v_xor_b32_e32 v32, v33, v3
	v_sub_co_u32_e32 v32, vcc, v32, v3
	v_subb_co_u32_e32 v33, vcc, v36, v3, vcc
.LBB5_55:                               ;   in Loop: Header=BB5_52 Depth=3
	s_andn2_saveexec_b64 s[4:5], s[66:67]
	s_cbranch_execz .LBB5_57
; %bb.56:                               ;   in Loop: Header=BB5_52 Depth=3
	v_cvt_f32_u32_e32 v3, s46
	s_sub_i32 s66, 0, s46
	v_rcp_iflag_f32_e32 v3, v3
	v_mul_f32_e32 v3, 0x4f7ffffe, v3
	v_cvt_u32_f32_e32 v3, v3
	v_mul_lo_u32 v32, s66, v3
	v_mul_hi_u32 v32, v3, v32
	v_add_u32_e32 v3, v3, v32
	v_mul_hi_u32 v3, v26, v3
	v_mul_lo_u32 v32, v3, s46
	v_add_u32_e32 v33, 1, v3
	v_sub_u32_e32 v32, v26, v32
	v_subrev_u32_e32 v36, s46, v32
	v_cmp_le_u32_e32 vcc, s46, v32
	v_cndmask_b32_e32 v32, v32, v36, vcc
	v_cndmask_b32_e32 v3, v3, v33, vcc
	v_add_u32_e32 v33, 1, v3
	v_cmp_le_u32_e32 vcc, s46, v32
	v_cndmask_b32_e32 v32, v3, v33, vcc
	v_mov_b32_e32 v33, v2
.LBB5_57:                               ;   in Loop: Header=BB5_52 Depth=3
	s_or_b64 exec, exec, s[4:5]
	v_mul_lo_u32 v3, v33, s46
	v_mul_lo_u32 v38, v32, s47
	v_mad_u64_u32 v[36:37], s[4:5], v32, s46, 0
	v_add3_u32 v3, v37, v38, v3
	v_sub_co_u32_e32 v36, vcc, v26, v36
	v_subb_co_u32_e32 v37, vcc, v27, v3, vcc
	v_cmp_eq_u64_e32 vcc, 0, v[36:37]
	s_and_saveexec_b64 s[4:5], vcc
	s_cbranch_execz .LBB5_50
; %bb.58:                               ;   in Loop: Header=BB5_52 Depth=3
	v_add_co_u32_e32 v3, vcc, v16, v32
	v_addc_co_u32_e32 v32, vcc, v17, v33, vcc
	v_mul_lo_u32 v36, v3, s49
	v_mul_lo_u32 v37, v32, s48
	v_mad_u64_u32 v[32:33], s[66:67], v3, s48, v[18:19]
	v_add3_u32 v3, v37, v33, v36
	v_mul_lo_u32 v3, s52, v3
	v_mul_lo_u32 v36, s53, v32
	v_mad_u64_u32 v[32:33], s[66:67], s52, v32, v[28:29]
	v_add3_u32 v33, v36, v33, v3
	global_load_ushort v3, v[32:33], off
	s_waitcnt vmcnt(0)
	v_lshlrev_b32_e32 v3, 16, v3
	v_add_f32_e32 v35, v35, v3
	s_branch .LBB5_50
.LBB5_59:
	s_endpgm
	.section	.rodata,"a",@progbits
	.p2align	6, 0x0
	.amdhsa_kernel _ZN2at6native21col2im_batched_kernelIN3c108BFloat16EEEvlPKT_llllllllllllllPS4_l
		.amdhsa_group_segment_fixed_size 0
		.amdhsa_private_segment_fixed_size 0
		.amdhsa_kernarg_size 400
		.amdhsa_user_sgpr_count 6
		.amdhsa_user_sgpr_private_segment_buffer 1
		.amdhsa_user_sgpr_dispatch_ptr 0
		.amdhsa_user_sgpr_queue_ptr 0
		.amdhsa_user_sgpr_kernarg_segment_ptr 1
		.amdhsa_user_sgpr_dispatch_id 0
		.amdhsa_user_sgpr_flat_scratch_init 0
		.amdhsa_user_sgpr_private_segment_size 0
		.amdhsa_uses_dynamic_stack 0
		.amdhsa_system_sgpr_private_segment_wavefront_offset 0
		.amdhsa_system_sgpr_workgroup_id_x 1
		.amdhsa_system_sgpr_workgroup_id_y 0
		.amdhsa_system_sgpr_workgroup_id_z 0
		.amdhsa_system_sgpr_workgroup_info 0
		.amdhsa_system_vgpr_workitem_id 0
		.amdhsa_next_free_vgpr 44
		.amdhsa_next_free_sgpr 82
		.amdhsa_reserve_vcc 1
		.amdhsa_reserve_flat_scratch 0
		.amdhsa_float_round_mode_32 0
		.amdhsa_float_round_mode_16_64 0
		.amdhsa_float_denorm_mode_32 3
		.amdhsa_float_denorm_mode_16_64 3
		.amdhsa_dx10_clamp 1
		.amdhsa_ieee_mode 1
		.amdhsa_fp16_overflow 0
		.amdhsa_exception_fp_ieee_invalid_op 0
		.amdhsa_exception_fp_denorm_src 0
		.amdhsa_exception_fp_ieee_div_zero 0
		.amdhsa_exception_fp_ieee_overflow 0
		.amdhsa_exception_fp_ieee_underflow 0
		.amdhsa_exception_fp_ieee_inexact 0
		.amdhsa_exception_int_div_zero 0
	.end_amdhsa_kernel
	.section	.text._ZN2at6native21col2im_batched_kernelIN3c108BFloat16EEEvlPKT_llllllllllllllPS4_l,"axG",@progbits,_ZN2at6native21col2im_batched_kernelIN3c108BFloat16EEEvlPKT_llllllllllllllPS4_l,comdat
.Lfunc_end5:
	.size	_ZN2at6native21col2im_batched_kernelIN3c108BFloat16EEEvlPKT_llllllllllllllPS4_l, .Lfunc_end5-_ZN2at6native21col2im_batched_kernelIN3c108BFloat16EEEvlPKT_llllllllllllllPS4_l
                                        ; -- End function
	.set _ZN2at6native21col2im_batched_kernelIN3c108BFloat16EEEvlPKT_llllllllllllllPS4_l.num_vgpr, 44
	.set _ZN2at6native21col2im_batched_kernelIN3c108BFloat16EEEvlPKT_llllllllllllllPS4_l.num_agpr, 0
	.set _ZN2at6native21col2im_batched_kernelIN3c108BFloat16EEEvlPKT_llllllllllllllPS4_l.numbered_sgpr, 82
	.set _ZN2at6native21col2im_batched_kernelIN3c108BFloat16EEEvlPKT_llllllllllllllPS4_l.num_named_barrier, 0
	.set _ZN2at6native21col2im_batched_kernelIN3c108BFloat16EEEvlPKT_llllllllllllllPS4_l.private_seg_size, 0
	.set _ZN2at6native21col2im_batched_kernelIN3c108BFloat16EEEvlPKT_llllllllllllllPS4_l.uses_vcc, 1
	.set _ZN2at6native21col2im_batched_kernelIN3c108BFloat16EEEvlPKT_llllllllllllllPS4_l.uses_flat_scratch, 0
	.set _ZN2at6native21col2im_batched_kernelIN3c108BFloat16EEEvlPKT_llllllllllllllPS4_l.has_dyn_sized_stack, 0
	.set _ZN2at6native21col2im_batched_kernelIN3c108BFloat16EEEvlPKT_llllllllllllllPS4_l.has_recursion, 0
	.set _ZN2at6native21col2im_batched_kernelIN3c108BFloat16EEEvlPKT_llllllllllllllPS4_l.has_indirect_call, 0
	.section	.AMDGPU.csdata,"",@progbits
; Kernel info:
; codeLenInByte = 8580
; TotalNumSgprs: 86
; NumVgprs: 44
; ScratchSize: 0
; MemoryBound: 0
; FloatMode: 240
; IeeeMode: 1
; LDSByteSize: 0 bytes/workgroup (compile time only)
; SGPRBlocks: 10
; VGPRBlocks: 10
; NumSGPRsForWavesPerEU: 86
; NumVGPRsForWavesPerEU: 44
; Occupancy: 5
; WaveLimiterHint : 0
; COMPUTE_PGM_RSRC2:SCRATCH_EN: 0
; COMPUTE_PGM_RSRC2:USER_SGPR: 6
; COMPUTE_PGM_RSRC2:TRAP_HANDLER: 0
; COMPUTE_PGM_RSRC2:TGID_X_EN: 1
; COMPUTE_PGM_RSRC2:TGID_Y_EN: 0
; COMPUTE_PGM_RSRC2:TGID_Z_EN: 0
; COMPUTE_PGM_RSRC2:TIDIG_COMP_CNT: 0
	.section	.text._ZN2at6native21col2im_batched_kernelIbEEvlPKT_llllllllllllllPS2_l,"axG",@progbits,_ZN2at6native21col2im_batched_kernelIbEEvlPKT_llllllllllllllPS2_l,comdat
	.protected	_ZN2at6native21col2im_batched_kernelIbEEvlPKT_llllllllllllllPS2_l ; -- Begin function _ZN2at6native21col2im_batched_kernelIbEEvlPKT_llllllllllllllPS2_l
	.globl	_ZN2at6native21col2im_batched_kernelIbEEvlPKT_llllllllllllllPS2_l
	.p2align	8
	.type	_ZN2at6native21col2im_batched_kernelIbEEvlPKT_llllllllllllllPS2_l,@function
_ZN2at6native21col2im_batched_kernelIbEEvlPKT_llllllllllllllPS2_l: ; @_ZN2at6native21col2im_batched_kernelIbEEvlPKT_llllllllllllllPS2_l
; %bb.0:
	s_load_dwordx16 s[8:23], s[4:5], 0x0
	s_load_dword s2, s[4:5], 0x9c
	v_mov_b32_e32 v2, 0
	v_mov_b32_e32 v1, v2
	;; [unrolled: 1-line block ×3, first 2 shown]
	s_waitcnt lgkmcnt(0)
	s_mul_i32 s0, s14, s9
	s_mul_hi_u32 s1, s14, s8
	s_add_i32 s0, s1, s0
	s_mul_i32 s1, s15, s8
	s_add_i32 s7, s0, s1
	s_add_u32 s0, s4, 0x90
	s_addc_u32 s1, s5, 0
	s_and_b32 s2, s2, 0xffff
	v_mad_u64_u32 v[0:1], s[24:25], s2, v3, v[0:1]
	s_mul_i32 s6, s14, s8
	v_cmp_gt_i64_e32 vcc, s[6:7], v[0:1]
	s_and_saveexec_b64 s[14:15], vcc
	s_cbranch_execz .LBB6_59
; %bb.1:
	s_load_dwordx16 s[36:51], s[4:5], 0x40
	s_load_dwordx4 s[24:27], s[4:5], 0x80
	s_load_dword s3, s[0:1], 0x0
	s_mul_i32 s0, s18, s17
	s_mul_hi_u32 s1, s18, s16
	s_add_i32 s0, s1, s0
	s_mul_i32 s1, s19, s16
	s_add_i32 s33, s0, s1
	s_add_u32 s0, s22, -1
	s_addc_u32 s1, s23, -1
	s_waitcnt lgkmcnt(0)
	s_mul_i32 s1, s46, s1
	s_mul_hi_u32 s4, s46, s0
	s_add_i32 s1, s4, s1
	s_mul_i32 s4, s47, s0
	s_add_i32 s15, s1, s4
	s_mul_i32 s14, s46, s0
	s_add_u32 s0, s20, -1
	s_addc_u32 s1, s21, -1
	s_mul_i32 s1, s44, s1
	s_mul_hi_u32 s4, s44, s0
	s_add_i32 s1, s4, s1
	s_mul_i32 s4, s45, s0
	s_add_i32 s29, s1, s4
	s_mul_i32 s28, s44, s0
	s_mul_i32 s78, s18, s16
	s_not_b64 s[30:31], s[28:29]
	s_not_b64 s[34:35], s[14:15]
	s_mul_i32 s79, s3, s2
	s_mov_b64 s[52:53], 0
	s_branch .LBB6_4
.LBB6_2:                                ;   in Loop: Header=BB6_4 Depth=1
	s_or_b64 exec, exec, s[56:57]
	s_and_b64 s[0:1], s[58:59], exec
.LBB6_3:                                ;   in Loop: Header=BB6_4 Depth=1
	s_or_b64 exec, exec, s[54:55]
	v_mov_b32_e32 v6, s24
	v_mov_b32_e32 v7, s25
	v_mul_lo_u32 v8, v4, s27
	v_mul_lo_u32 v5, v5, s26
	v_mad_u64_u32 v[3:4], s[2:3], v4, s26, v[6:7]
	v_add3_u32 v4, v5, v4, v8
	v_add_co_u32_e32 v3, vcc, v3, v30
	v_addc_co_u32_e32 v4, vcc, v4, v31, vcc
	v_add_co_u32_e32 v0, vcc, s79, v0
	v_addc_co_u32_e32 v1, vcc, 0, v1, vcc
	v_cmp_le_i64_e32 vcc, s[6:7], v[0:1]
	v_cndmask_b32_e64 v5, 0, 1, s[0:1]
	s_or_b64 s[52:53], vcc, s[52:53]
	global_store_byte v[3:4], v5, off
	s_andn2_b64 exec, exec, s[52:53]
	s_cbranch_execz .LBB6_59
.LBB6_4:                                ; =>This Loop Header: Depth=1
                                        ;     Child Loop BB6_44 Depth 2
                                        ;       Child Loop BB6_52 Depth 3
	v_or_b32_e32 v3, s9, v1
	v_cmp_ne_u64_e32 vcc, 0, v[2:3]
                                        ; implicit-def: $vgpr4_vgpr5
	s_and_saveexec_b64 s[0:1], vcc
	s_xor_b64 s[2:3], exec, s[0:1]
	s_cbranch_execz .LBB6_6
; %bb.5:                                ;   in Loop: Header=BB6_4 Depth=1
	s_ashr_i32 s4, s9, 31
	s_add_u32 s0, s8, s4
	s_mov_b32 s5, s4
	s_addc_u32 s1, s9, s4
	s_xor_b64 s[54:55], s[0:1], s[4:5]
	v_cvt_f32_u32_e32 v3, s54
	v_cvt_f32_u32_e32 v4, s55
	s_sub_u32 s5, 0, s54
	s_subb_u32 s56, 0, s55
	v_ashrrev_i32_e32 v7, 31, v1
	v_mac_f32_e32 v3, 0x4f800000, v4
	v_rcp_f32_e32 v3, v3
	v_mul_f32_e32 v3, 0x5f7ffffc, v3
	v_mul_f32_e32 v4, 0x2f800000, v3
	v_trunc_f32_e32 v4, v4
	v_mac_f32_e32 v3, 0xcf800000, v4
	v_cvt_u32_f32_e32 v4, v4
	v_cvt_u32_f32_e32 v3, v3
	v_readfirstlane_b32 s57, v4
	v_readfirstlane_b32 s0, v3
	s_mul_i32 s1, s5, s57
	s_mul_hi_u32 s59, s5, s0
	s_mul_i32 s58, s56, s0
	s_add_i32 s1, s59, s1
	s_add_i32 s1, s1, s58
	s_mul_i32 s60, s5, s0
	s_mul_i32 s59, s0, s1
	s_mul_hi_u32 s61, s0, s60
	s_mul_hi_u32 s58, s0, s1
	s_add_u32 s59, s61, s59
	s_addc_u32 s58, 0, s58
	s_mul_hi_u32 s62, s57, s60
	s_mul_i32 s60, s57, s60
	s_add_u32 s59, s59, s60
	s_mul_hi_u32 s61, s57, s1
	s_addc_u32 s58, s58, s62
	s_addc_u32 s59, s61, 0
	s_mul_i32 s1, s57, s1
	s_add_u32 s1, s58, s1
	s_addc_u32 s58, 0, s59
	s_add_u32 s59, s0, s1
	s_cselect_b64 s[0:1], -1, 0
	s_cmp_lg_u64 s[0:1], 0
	s_addc_u32 s57, s57, s58
	s_mul_i32 s0, s5, s57
	s_mul_hi_u32 s1, s5, s59
	s_add_i32 s0, s1, s0
	s_mul_i32 s56, s56, s59
	s_add_i32 s0, s0, s56
	s_mul_i32 s5, s5, s59
	s_mul_hi_u32 s56, s57, s5
	s_mul_i32 s58, s57, s5
	s_mul_i32 s61, s59, s0
	s_mul_hi_u32 s5, s59, s5
	s_mul_hi_u32 s60, s59, s0
	s_add_u32 s5, s5, s61
	s_addc_u32 s60, 0, s60
	s_add_u32 s5, s5, s58
	s_mul_hi_u32 s1, s57, s0
	s_addc_u32 s5, s60, s56
	s_addc_u32 s1, s1, 0
	s_mul_i32 s0, s57, s0
	s_add_u32 s0, s5, s0
	s_addc_u32 s5, 0, s1
	s_add_u32 s56, s59, s0
	s_cselect_b64 s[0:1], -1, 0
	s_cmp_lg_u64 s[0:1], 0
	v_add_co_u32_e32 v3, vcc, v0, v7
	s_addc_u32 s5, s57, s5
	v_xor_b32_e32 v8, v3, v7
	v_mad_u64_u32 v[3:4], s[0:1], v8, s5, 0
	v_mul_hi_u32 v6, v8, s56
	v_addc_co_u32_e32 v5, vcc, v1, v7, vcc
	v_xor_b32_e32 v9, v5, v7
	v_add_co_u32_e32 v10, vcc, v6, v3
	v_addc_co_u32_e32 v11, vcc, 0, v4, vcc
	v_mad_u64_u32 v[3:4], s[0:1], v9, s56, 0
	v_mad_u64_u32 v[5:6], s[0:1], v9, s5, 0
	v_add_co_u32_e32 v3, vcc, v10, v3
	v_addc_co_u32_e32 v3, vcc, v11, v4, vcc
	v_addc_co_u32_e32 v4, vcc, 0, v6, vcc
	v_add_co_u32_e32 v5, vcc, v3, v5
	v_addc_co_u32_e32 v6, vcc, 0, v4, vcc
	v_mul_lo_u32 v10, s55, v5
	v_mul_lo_u32 v11, s54, v6
	v_mad_u64_u32 v[3:4], s[0:1], s54, v5, 0
	v_add3_u32 v4, v4, v11, v10
	v_sub_u32_e32 v10, v9, v4
	v_mov_b32_e32 v11, s55
	v_sub_co_u32_e32 v3, vcc, v8, v3
	v_subb_co_u32_e64 v8, s[0:1], v10, v11, vcc
	v_subrev_co_u32_e64 v10, s[0:1], s54, v3
	v_subbrev_co_u32_e64 v8, s[0:1], 0, v8, s[0:1]
	v_cmp_le_u32_e64 s[0:1], s55, v8
	v_cndmask_b32_e64 v11, 0, -1, s[0:1]
	v_cmp_le_u32_e64 s[0:1], s54, v10
	v_cndmask_b32_e64 v10, 0, -1, s[0:1]
	v_cmp_eq_u32_e64 s[0:1], s55, v8
	v_cndmask_b32_e64 v8, v11, v10, s[0:1]
	v_add_co_u32_e64 v10, s[0:1], 2, v5
	v_subb_co_u32_e32 v4, vcc, v9, v4, vcc
	v_addc_co_u32_e64 v11, s[0:1], 0, v6, s[0:1]
	v_cmp_le_u32_e32 vcc, s55, v4
	v_add_co_u32_e64 v12, s[0:1], 1, v5
	v_cndmask_b32_e64 v9, 0, -1, vcc
	v_cmp_le_u32_e32 vcc, s54, v3
	v_addc_co_u32_e64 v13, s[0:1], 0, v6, s[0:1]
	v_cndmask_b32_e64 v3, 0, -1, vcc
	v_cmp_eq_u32_e32 vcc, s55, v4
	v_cmp_ne_u32_e64 s[0:1], 0, v8
	v_cndmask_b32_e32 v3, v9, v3, vcc
	v_cmp_ne_u32_e32 vcc, 0, v3
	v_cndmask_b32_e64 v4, v12, v10, s[0:1]
	v_cndmask_b32_e64 v8, v13, v11, s[0:1]
	v_cndmask_b32_e32 v4, v5, v4, vcc
	v_xor_b32_e32 v5, s4, v7
	v_cndmask_b32_e32 v3, v6, v8, vcc
	v_xor_b32_e32 v4, v4, v5
	v_xor_b32_e32 v3, v3, v5
	v_sub_co_u32_e32 v4, vcc, v4, v5
	v_subb_co_u32_e32 v5, vcc, v3, v5, vcc
.LBB6_6:                                ;   in Loop: Header=BB6_4 Depth=1
	s_andn2_saveexec_b64 s[0:1], s[2:3]
	s_cbranch_execz .LBB6_8
; %bb.7:                                ;   in Loop: Header=BB6_4 Depth=1
	v_cvt_f32_u32_e32 v3, s8
	s_sub_i32 s2, 0, s8
	v_rcp_iflag_f32_e32 v3, v3
	v_mul_f32_e32 v3, 0x4f7ffffe, v3
	v_cvt_u32_f32_e32 v3, v3
	v_mul_lo_u32 v4, s2, v3
	v_mul_hi_u32 v4, v3, v4
	v_add_u32_e32 v3, v3, v4
	v_mul_hi_u32 v3, v0, v3
	v_mul_lo_u32 v4, v3, s8
	v_add_u32_e32 v5, 1, v3
	v_sub_u32_e32 v4, v0, v4
	v_subrev_u32_e32 v6, s8, v4
	v_cmp_le_u32_e32 vcc, s8, v4
	v_cndmask_b32_e32 v4, v4, v6, vcc
	v_cndmask_b32_e32 v3, v3, v5, vcc
	v_add_u32_e32 v5, 1, v3
	v_cmp_le_u32_e32 vcc, s8, v4
	v_cndmask_b32_e32 v4, v3, v5, vcc
	v_mov_b32_e32 v5, v2
.LBB6_8:                                ;   in Loop: Header=BB6_4 Depth=1
	s_or_b64 exec, exec, s[0:1]
	v_mul_lo_u32 v3, v5, s8
	v_mul_lo_u32 v8, v4, s9
	v_mad_u64_u32 v[6:7], s[0:1], v4, s8, 0
	v_add3_u32 v7, v7, v8, v3
	v_sub_co_u32_e32 v30, vcc, v0, v6
	v_subb_co_u32_e32 v31, vcc, v1, v7, vcc
	v_or_b32_e32 v3, s19, v31
	v_cmp_ne_u64_e32 vcc, 0, v[2:3]
	v_ashrrev_i32_e32 v14, 31, v31
                                        ; implicit-def: $vgpr8_vgpr9
	s_and_saveexec_b64 s[0:1], vcc
	s_xor_b64 s[2:3], exec, s[0:1]
	s_cbranch_execz .LBB6_10
; %bb.9:                                ;   in Loop: Header=BB6_4 Depth=1
	s_ashr_i32 s4, s19, 31
	s_add_u32 s0, s18, s4
	s_mov_b32 s5, s4
	s_addc_u32 s1, s19, s4
	s_xor_b64 s[54:55], s[0:1], s[4:5]
	v_cvt_f32_u32_e32 v3, s54
	v_cvt_f32_u32_e32 v8, s55
	s_sub_u32 s5, 0, s54
	s_subb_u32 s56, 0, s55
	v_mac_f32_e32 v3, 0x4f800000, v8
	v_rcp_f32_e32 v3, v3
	v_mul_f32_e32 v3, 0x5f7ffffc, v3
	v_mul_f32_e32 v8, 0x2f800000, v3
	v_trunc_f32_e32 v8, v8
	v_mac_f32_e32 v3, 0xcf800000, v8
	v_cvt_u32_f32_e32 v8, v8
	v_cvt_u32_f32_e32 v3, v3
	v_readfirstlane_b32 s57, v8
	v_readfirstlane_b32 s0, v3
	s_mul_i32 s1, s5, s57
	s_mul_hi_u32 s59, s5, s0
	s_mul_i32 s58, s56, s0
	s_add_i32 s1, s59, s1
	s_add_i32 s1, s1, s58
	s_mul_i32 s60, s5, s0
	s_mul_i32 s59, s0, s1
	s_mul_hi_u32 s61, s0, s60
	s_mul_hi_u32 s58, s0, s1
	s_add_u32 s59, s61, s59
	s_addc_u32 s58, 0, s58
	s_mul_hi_u32 s62, s57, s60
	s_mul_i32 s60, s57, s60
	s_add_u32 s59, s59, s60
	s_mul_hi_u32 s61, s57, s1
	s_addc_u32 s58, s58, s62
	s_addc_u32 s59, s61, 0
	s_mul_i32 s1, s57, s1
	s_add_u32 s1, s58, s1
	s_addc_u32 s58, 0, s59
	s_add_u32 s59, s0, s1
	s_cselect_b64 s[0:1], -1, 0
	s_cmp_lg_u64 s[0:1], 0
	s_addc_u32 s57, s57, s58
	s_mul_i32 s0, s5, s57
	s_mul_hi_u32 s1, s5, s59
	s_add_i32 s0, s1, s0
	s_mul_i32 s56, s56, s59
	s_add_i32 s0, s0, s56
	s_mul_i32 s5, s5, s59
	s_mul_hi_u32 s56, s57, s5
	s_mul_i32 s58, s57, s5
	s_mul_i32 s61, s59, s0
	s_mul_hi_u32 s5, s59, s5
	s_mul_hi_u32 s60, s59, s0
	s_add_u32 s5, s5, s61
	s_addc_u32 s60, 0, s60
	s_add_u32 s5, s5, s58
	s_mul_hi_u32 s1, s57, s0
	s_addc_u32 s5, s60, s56
	s_addc_u32 s1, s1, 0
	s_mul_i32 s0, s57, s0
	s_add_u32 s0, s5, s0
	s_addc_u32 s5, 0, s1
	s_add_u32 s56, s59, s0
	s_cselect_b64 s[0:1], -1, 0
	s_cmp_lg_u64 s[0:1], 0
	v_add_co_u32_e32 v3, vcc, v30, v14
	s_addc_u32 s5, s57, s5
	v_xor_b32_e32 v3, v3, v14
	v_mad_u64_u32 v[8:9], s[0:1], v3, s5, 0
	v_mul_hi_u32 v11, v3, s56
	v_addc_co_u32_e32 v10, vcc, v31, v14, vcc
	v_xor_b32_e32 v12, v10, v14
	v_add_co_u32_e32 v13, vcc, v11, v8
	v_addc_co_u32_e32 v15, vcc, 0, v9, vcc
	v_mad_u64_u32 v[8:9], s[0:1], v12, s56, 0
	v_mad_u64_u32 v[10:11], s[0:1], v12, s5, 0
	v_add_co_u32_e32 v8, vcc, v13, v8
	v_addc_co_u32_e32 v8, vcc, v15, v9, vcc
	v_addc_co_u32_e32 v9, vcc, 0, v11, vcc
	v_add_co_u32_e32 v10, vcc, v8, v10
	v_addc_co_u32_e32 v11, vcc, 0, v9, vcc
	v_mul_lo_u32 v13, s55, v10
	v_mul_lo_u32 v15, s54, v11
	v_mad_u64_u32 v[8:9], s[0:1], s54, v10, 0
	v_add3_u32 v9, v9, v15, v13
	v_sub_u32_e32 v13, v12, v9
	v_mov_b32_e32 v15, s55
	v_sub_co_u32_e32 v3, vcc, v3, v8
	v_subb_co_u32_e64 v8, s[0:1], v13, v15, vcc
	v_subrev_co_u32_e64 v13, s[0:1], s54, v3
	v_subbrev_co_u32_e64 v8, s[0:1], 0, v8, s[0:1]
	v_cmp_le_u32_e64 s[0:1], s55, v8
	v_cndmask_b32_e64 v15, 0, -1, s[0:1]
	v_cmp_le_u32_e64 s[0:1], s54, v13
	v_cndmask_b32_e64 v13, 0, -1, s[0:1]
	v_cmp_eq_u32_e64 s[0:1], s55, v8
	v_cndmask_b32_e64 v8, v15, v13, s[0:1]
	v_add_co_u32_e64 v13, s[0:1], 2, v10
	v_subb_co_u32_e32 v9, vcc, v12, v9, vcc
	v_addc_co_u32_e64 v15, s[0:1], 0, v11, s[0:1]
	v_cmp_le_u32_e32 vcc, s55, v9
	v_add_co_u32_e64 v16, s[0:1], 1, v10
	v_cndmask_b32_e64 v12, 0, -1, vcc
	v_cmp_le_u32_e32 vcc, s54, v3
	v_addc_co_u32_e64 v17, s[0:1], 0, v11, s[0:1]
	v_cndmask_b32_e64 v3, 0, -1, vcc
	v_cmp_eq_u32_e32 vcc, s55, v9
	v_cmp_ne_u32_e64 s[0:1], 0, v8
	v_cndmask_b32_e32 v3, v12, v3, vcc
	v_cndmask_b32_e64 v8, v17, v15, s[0:1]
	v_cmp_ne_u32_e32 vcc, 0, v3
	v_cndmask_b32_e32 v3, v11, v8, vcc
	v_cndmask_b32_e64 v8, v16, v13, s[0:1]
	v_cndmask_b32_e32 v8, v10, v8, vcc
	v_xor_b32_e32 v9, s4, v14
	v_xor_b32_e32 v8, v8, v9
	;; [unrolled: 1-line block ×3, first 2 shown]
	v_sub_co_u32_e32 v8, vcc, v8, v9
	v_subb_co_u32_e32 v9, vcc, v3, v9, vcc
.LBB6_10:                               ;   in Loop: Header=BB6_4 Depth=1
	s_andn2_saveexec_b64 s[0:1], s[2:3]
	s_cbranch_execz .LBB6_12
; %bb.11:                               ;   in Loop: Header=BB6_4 Depth=1
	v_cvt_f32_u32_e32 v3, s18
	s_sub_i32 s2, 0, s18
	v_rcp_iflag_f32_e32 v3, v3
	v_mul_f32_e32 v3, 0x4f7ffffe, v3
	v_cvt_u32_f32_e32 v3, v3
	v_mul_lo_u32 v8, s2, v3
	v_mul_hi_u32 v8, v3, v8
	v_add_u32_e32 v3, v3, v8
	v_mul_hi_u32 v3, v30, v3
	v_mul_lo_u32 v8, v3, s18
	v_add_u32_e32 v9, 1, v3
	v_sub_u32_e32 v8, v30, v8
	v_subrev_u32_e32 v10, s18, v8
	v_cmp_le_u32_e32 vcc, s18, v8
	v_cndmask_b32_e32 v8, v8, v10, vcc
	v_cndmask_b32_e32 v3, v3, v9, vcc
	v_add_u32_e32 v9, 1, v3
	v_cmp_le_u32_e32 vcc, s18, v8
	v_cndmask_b32_e32 v8, v3, v9, vcc
	v_mov_b32_e32 v9, v2
.LBB6_12:                               ;   in Loop: Header=BB6_4 Depth=1
	s_or_b64 exec, exec, s[0:1]
	v_or_b32_e32 v3, s17, v9
	v_cmp_ne_u64_e32 vcc, 0, v[2:3]
                                        ; implicit-def: $vgpr10_vgpr11
	s_and_saveexec_b64 s[0:1], vcc
	s_xor_b64 s[4:5], exec, s[0:1]
	s_cbranch_execz .LBB6_14
; %bb.13:                               ;   in Loop: Header=BB6_4 Depth=1
	s_ashr_i32 s0, s17, 31
	s_add_u32 s2, s16, s0
	s_mov_b32 s1, s0
	s_addc_u32 s3, s17, s0
	s_xor_b64 s[54:55], s[2:3], s[0:1]
	v_cvt_f32_u32_e32 v3, s54
	v_cvt_f32_u32_e32 v10, s55
	s_sub_u32 s2, 0, s54
	s_subb_u32 s3, 0, s55
	v_mac_f32_e32 v3, 0x4f800000, v10
	v_rcp_f32_e32 v3, v3
	v_mul_f32_e32 v3, 0x5f7ffffc, v3
	v_mul_f32_e32 v10, 0x2f800000, v3
	v_trunc_f32_e32 v10, v10
	v_mac_f32_e32 v3, 0xcf800000, v10
	v_cvt_u32_f32_e32 v10, v10
	v_cvt_u32_f32_e32 v3, v3
	v_readfirstlane_b32 s56, v10
	v_readfirstlane_b32 s0, v3
	s_mul_i32 s1, s2, s56
	s_mul_hi_u32 s58, s2, s0
	s_mul_i32 s57, s3, s0
	s_add_i32 s1, s58, s1
	s_add_i32 s1, s1, s57
	s_mul_i32 s59, s2, s0
	s_mul_i32 s58, s0, s1
	s_mul_hi_u32 s60, s0, s59
	s_mul_hi_u32 s57, s0, s1
	s_add_u32 s58, s60, s58
	s_addc_u32 s57, 0, s57
	s_mul_hi_u32 s61, s56, s59
	s_mul_i32 s59, s56, s59
	s_add_u32 s58, s58, s59
	s_mul_hi_u32 s60, s56, s1
	s_addc_u32 s57, s57, s61
	s_addc_u32 s58, s60, 0
	s_mul_i32 s1, s56, s1
	s_add_u32 s1, s57, s1
	s_addc_u32 s57, 0, s58
	s_add_u32 s58, s0, s1
	s_cselect_b64 s[0:1], -1, 0
	s_cmp_lg_u64 s[0:1], 0
	s_addc_u32 s56, s56, s57
	s_mul_i32 s0, s2, s56
	s_mul_hi_u32 s1, s2, s58
	s_add_i32 s0, s1, s0
	s_mul_i32 s3, s3, s58
	s_add_i32 s0, s0, s3
	s_mul_i32 s2, s2, s58
	s_mul_hi_u32 s3, s56, s2
	s_mul_i32 s57, s56, s2
	s_mul_i32 s60, s58, s0
	s_mul_hi_u32 s2, s58, s2
	s_mul_hi_u32 s59, s58, s0
	s_add_u32 s2, s2, s60
	s_addc_u32 s59, 0, s59
	s_add_u32 s2, s2, s57
	s_mul_hi_u32 s1, s56, s0
	s_addc_u32 s2, s59, s3
	s_addc_u32 s1, s1, 0
	s_mul_i32 s0, s56, s0
	s_add_u32 s0, s2, s0
	s_addc_u32 s2, 0, s1
	s_add_u32 s3, s58, s0
	s_cselect_b64 s[0:1], -1, 0
	v_ashrrev_i32_e32 v3, 31, v9
	s_cmp_lg_u64 s[0:1], 0
	v_add_co_u32_e32 v10, vcc, v8, v3
	s_addc_u32 s2, s56, s2
	v_xor_b32_e32 v15, v10, v3
	v_mad_u64_u32 v[10:11], s[0:1], v15, s2, 0
	v_mul_hi_u32 v13, v15, s3
	v_addc_co_u32_e32 v12, vcc, v9, v3, vcc
	v_xor_b32_e32 v16, v12, v3
	v_add_co_u32_e32 v17, vcc, v13, v10
	v_addc_co_u32_e32 v18, vcc, 0, v11, vcc
	v_mad_u64_u32 v[10:11], s[0:1], v16, s3, 0
	v_mad_u64_u32 v[12:13], s[0:1], v16, s2, 0
	v_add_co_u32_e32 v10, vcc, v17, v10
	v_addc_co_u32_e32 v10, vcc, v18, v11, vcc
	v_addc_co_u32_e32 v11, vcc, 0, v13, vcc
	v_add_co_u32_e32 v10, vcc, v10, v12
	v_addc_co_u32_e32 v11, vcc, 0, v11, vcc
	v_mul_lo_u32 v12, s55, v10
	v_mul_lo_u32 v13, s54, v11
	v_mad_u64_u32 v[10:11], s[0:1], s54, v10, 0
	v_add3_u32 v11, v11, v13, v12
	v_sub_u32_e32 v12, v16, v11
	v_mov_b32_e32 v13, s55
	v_sub_co_u32_e32 v10, vcc, v15, v10
	v_subb_co_u32_e64 v12, s[0:1], v12, v13, vcc
	v_subrev_co_u32_e64 v15, s[0:1], s54, v10
	v_subbrev_co_u32_e64 v17, s[2:3], 0, v12, s[0:1]
	v_cmp_le_u32_e64 s[2:3], s55, v17
	v_cndmask_b32_e64 v18, 0, -1, s[2:3]
	v_cmp_le_u32_e64 s[2:3], s54, v15
	v_subb_co_u32_e64 v12, s[0:1], v12, v13, s[0:1]
	v_cndmask_b32_e64 v19, 0, -1, s[2:3]
	v_cmp_eq_u32_e64 s[2:3], s55, v17
	v_subrev_co_u32_e64 v13, s[0:1], s54, v15
	v_subb_co_u32_e32 v11, vcc, v16, v11, vcc
	v_cndmask_b32_e64 v18, v18, v19, s[2:3]
	v_subbrev_co_u32_e64 v12, s[0:1], 0, v12, s[0:1]
	v_cmp_le_u32_e32 vcc, s55, v11
	v_cmp_ne_u32_e64 s[0:1], 0, v18
	v_cndmask_b32_e64 v16, 0, -1, vcc
	v_cmp_le_u32_e32 vcc, s54, v10
	v_cndmask_b32_e64 v12, v17, v12, s[0:1]
	v_cndmask_b32_e64 v17, 0, -1, vcc
	v_cmp_eq_u32_e32 vcc, s55, v11
	v_cndmask_b32_e32 v16, v16, v17, vcc
	v_cmp_ne_u32_e32 vcc, 0, v16
	v_cndmask_b32_e32 v11, v11, v12, vcc
	v_cndmask_b32_e64 v12, v15, v13, s[0:1]
	v_cndmask_b32_e32 v10, v10, v12, vcc
	v_xor_b32_e32 v10, v10, v3
	v_xor_b32_e32 v11, v11, v3
	v_sub_co_u32_e32 v10, vcc, v10, v3
	v_subb_co_u32_e32 v11, vcc, v11, v3, vcc
.LBB6_14:                               ;   in Loop: Header=BB6_4 Depth=1
	s_andn2_saveexec_b64 s[0:1], s[4:5]
	s_cbranch_execz .LBB6_16
; %bb.15:                               ;   in Loop: Header=BB6_4 Depth=1
	v_cvt_f32_u32_e32 v3, s16
	s_sub_i32 s2, 0, s16
	v_mov_b32_e32 v11, v2
	v_rcp_iflag_f32_e32 v3, v3
	v_mul_f32_e32 v3, 0x4f7ffffe, v3
	v_cvt_u32_f32_e32 v3, v3
	v_mul_lo_u32 v10, s2, v3
	v_mul_hi_u32 v10, v3, v10
	v_add_u32_e32 v3, v3, v10
	v_mul_hi_u32 v3, v8, v3
	v_mul_lo_u32 v3, v3, s16
	v_sub_u32_e32 v3, v8, v3
	v_subrev_u32_e32 v10, s16, v3
	v_cmp_le_u32_e32 vcc, s16, v3
	v_cndmask_b32_e32 v3, v3, v10, vcc
	v_subrev_u32_e32 v10, s16, v3
	v_cmp_le_u32_e32 vcc, s16, v3
	v_cndmask_b32_e32 v10, v3, v10, vcc
.LBB6_16:                               ;   in Loop: Header=BB6_4 Depth=1
	s_or_b64 exec, exec, s[0:1]
	v_or_b32_e32 v3, s33, v31
	v_cmp_ne_u64_e32 vcc, 0, v[2:3]
                                        ; implicit-def: $vgpr12_vgpr13
	s_and_saveexec_b64 s[0:1], vcc
	s_xor_b64 s[2:3], exec, s[0:1]
	s_cbranch_execz .LBB6_18
; %bb.17:                               ;   in Loop: Header=BB6_4 Depth=1
	s_ashr_i32 s4, s33, 31
	s_add_u32 s0, s78, s4
	s_mov_b32 s5, s4
	s_addc_u32 s1, s33, s4
	s_xor_b64 s[54:55], s[0:1], s[4:5]
	v_cvt_f32_u32_e32 v3, s54
	v_cvt_f32_u32_e32 v12, s55
	s_sub_u32 s5, 0, s54
	s_subb_u32 s56, 0, s55
	v_mac_f32_e32 v3, 0x4f800000, v12
	v_rcp_f32_e32 v3, v3
	v_mul_f32_e32 v3, 0x5f7ffffc, v3
	v_mul_f32_e32 v12, 0x2f800000, v3
	v_trunc_f32_e32 v12, v12
	v_mac_f32_e32 v3, 0xcf800000, v12
	v_cvt_u32_f32_e32 v12, v12
	v_cvt_u32_f32_e32 v3, v3
	v_readfirstlane_b32 s57, v12
	v_readfirstlane_b32 s0, v3
	s_mul_i32 s1, s5, s57
	s_mul_hi_u32 s59, s5, s0
	s_mul_i32 s58, s56, s0
	s_add_i32 s1, s59, s1
	s_add_i32 s1, s1, s58
	s_mul_i32 s60, s5, s0
	s_mul_i32 s59, s0, s1
	s_mul_hi_u32 s61, s0, s60
	s_mul_hi_u32 s58, s0, s1
	s_add_u32 s59, s61, s59
	s_addc_u32 s58, 0, s58
	s_mul_hi_u32 s62, s57, s60
	s_mul_i32 s60, s57, s60
	s_add_u32 s59, s59, s60
	s_mul_hi_u32 s61, s57, s1
	s_addc_u32 s58, s58, s62
	s_addc_u32 s59, s61, 0
	s_mul_i32 s1, s57, s1
	s_add_u32 s1, s58, s1
	s_addc_u32 s58, 0, s59
	s_add_u32 s59, s0, s1
	s_cselect_b64 s[0:1], -1, 0
	s_cmp_lg_u64 s[0:1], 0
	s_addc_u32 s57, s57, s58
	s_mul_i32 s0, s5, s57
	s_mul_hi_u32 s1, s5, s59
	s_add_i32 s0, s1, s0
	s_mul_i32 s56, s56, s59
	s_add_i32 s0, s0, s56
	s_mul_i32 s5, s5, s59
	s_mul_hi_u32 s56, s57, s5
	s_mul_i32 s58, s57, s5
	s_mul_i32 s61, s59, s0
	s_mul_hi_u32 s5, s59, s5
	s_mul_hi_u32 s60, s59, s0
	s_add_u32 s5, s5, s61
	s_addc_u32 s60, 0, s60
	s_add_u32 s5, s5, s58
	s_mul_hi_u32 s1, s57, s0
	s_addc_u32 s5, s60, s56
	s_addc_u32 s1, s1, 0
	s_mul_i32 s0, s57, s0
	s_add_u32 s0, s5, s0
	s_addc_u32 s5, 0, s1
	s_add_u32 s56, s59, s0
	s_cselect_b64 s[0:1], -1, 0
	s_cmp_lg_u64 s[0:1], 0
	v_add_co_u32_e32 v3, vcc, v30, v14
	s_addc_u32 s5, s57, s5
	v_xor_b32_e32 v3, v3, v14
	v_mad_u64_u32 v[12:13], s[0:1], v3, s5, 0
	v_mul_hi_u32 v16, v3, s56
	v_addc_co_u32_e32 v15, vcc, v31, v14, vcc
	v_xor_b32_e32 v17, v15, v14
	v_add_co_u32_e32 v18, vcc, v16, v12
	v_addc_co_u32_e32 v19, vcc, 0, v13, vcc
	v_mad_u64_u32 v[12:13], s[0:1], v17, s56, 0
	v_mad_u64_u32 v[15:16], s[0:1], v17, s5, 0
	v_add_co_u32_e32 v12, vcc, v18, v12
	v_addc_co_u32_e32 v12, vcc, v19, v13, vcc
	v_addc_co_u32_e32 v13, vcc, 0, v16, vcc
	v_add_co_u32_e32 v15, vcc, v12, v15
	v_addc_co_u32_e32 v16, vcc, 0, v13, vcc
	v_mul_lo_u32 v18, s55, v15
	v_mul_lo_u32 v19, s54, v16
	v_mad_u64_u32 v[12:13], s[0:1], s54, v15, 0
	v_add3_u32 v13, v13, v19, v18
	v_sub_u32_e32 v18, v17, v13
	v_mov_b32_e32 v19, s55
	v_sub_co_u32_e32 v3, vcc, v3, v12
	v_subb_co_u32_e64 v12, s[0:1], v18, v19, vcc
	v_subrev_co_u32_e64 v18, s[0:1], s54, v3
	v_subbrev_co_u32_e64 v12, s[0:1], 0, v12, s[0:1]
	v_cmp_le_u32_e64 s[0:1], s55, v12
	v_cndmask_b32_e64 v19, 0, -1, s[0:1]
	v_cmp_le_u32_e64 s[0:1], s54, v18
	v_cndmask_b32_e64 v18, 0, -1, s[0:1]
	v_cmp_eq_u32_e64 s[0:1], s55, v12
	v_cndmask_b32_e64 v12, v19, v18, s[0:1]
	v_add_co_u32_e64 v18, s[0:1], 2, v15
	v_subb_co_u32_e32 v13, vcc, v17, v13, vcc
	v_addc_co_u32_e64 v19, s[0:1], 0, v16, s[0:1]
	v_cmp_le_u32_e32 vcc, s55, v13
	v_add_co_u32_e64 v20, s[0:1], 1, v15
	v_cndmask_b32_e64 v17, 0, -1, vcc
	v_cmp_le_u32_e32 vcc, s54, v3
	v_addc_co_u32_e64 v21, s[0:1], 0, v16, s[0:1]
	v_cndmask_b32_e64 v3, 0, -1, vcc
	v_cmp_eq_u32_e32 vcc, s55, v13
	v_cmp_ne_u32_e64 s[0:1], 0, v12
	v_cndmask_b32_e32 v3, v17, v3, vcc
	v_cndmask_b32_e64 v12, v21, v19, s[0:1]
	v_cmp_ne_u32_e32 vcc, 0, v3
	v_cndmask_b32_e32 v3, v16, v12, vcc
	v_cndmask_b32_e64 v12, v20, v18, s[0:1]
	v_cndmask_b32_e32 v12, v15, v12, vcc
	v_xor_b32_e32 v13, s4, v14
	v_xor_b32_e32 v12, v12, v13
	;; [unrolled: 1-line block ×3, first 2 shown]
	v_sub_co_u32_e32 v12, vcc, v12, v13
	v_subb_co_u32_e32 v13, vcc, v3, v13, vcc
.LBB6_18:                               ;   in Loop: Header=BB6_4 Depth=1
	s_andn2_saveexec_b64 s[0:1], s[2:3]
	s_cbranch_execz .LBB6_20
; %bb.19:                               ;   in Loop: Header=BB6_4 Depth=1
	v_cvt_f32_u32_e32 v3, s78
	s_sub_i32 s2, 0, s78
	v_rcp_iflag_f32_e32 v3, v3
	v_mul_f32_e32 v3, 0x4f7ffffe, v3
	v_cvt_u32_f32_e32 v3, v3
	v_mul_lo_u32 v12, s2, v3
	v_mul_hi_u32 v12, v3, v12
	v_add_u32_e32 v3, v3, v12
	v_mul_hi_u32 v3, v30, v3
	v_mul_lo_u32 v12, v3, s78
	v_add_u32_e32 v13, 1, v3
	v_sub_u32_e32 v12, v30, v12
	v_subrev_u32_e32 v14, s78, v12
	v_cmp_le_u32_e32 vcc, s78, v12
	v_cndmask_b32_e32 v12, v12, v14, vcc
	v_cndmask_b32_e32 v3, v3, v13, vcc
	v_add_u32_e32 v13, 1, v3
	v_cmp_le_u32_e32 vcc, s78, v12
	v_cndmask_b32_e32 v12, v3, v13, vcc
	v_mov_b32_e32 v13, v2
.LBB6_20:                               ;   in Loop: Header=BB6_4 Depth=1
	s_or_b64 exec, exec, s[0:1]
	v_mul_lo_u32 v3, v9, s18
	v_mul_lo_u32 v9, v8, s19
	v_mad_u64_u32 v[14:15], s[0:1], v8, s18, 0
	v_add3_u32 v15, v15, v9, v3
	v_sub_co_u32_e32 v3, vcc, v30, v14
	v_subb_co_u32_e32 v8, vcc, v31, v15, vcc
	v_mov_b32_e32 v9, s39
	v_add_co_u32_e32 v16, vcc, s38, v3
	v_addc_co_u32_e32 v17, vcc, v8, v9, vcc
	v_cmp_lt_i64_e32 vcc, s[14:15], v[16:17]
	v_mov_b32_e32 v8, 0
	v_mov_b32_e32 v9, 0
	s_and_saveexec_b64 s[2:3], vcc
	s_cbranch_execz .LBB6_26
; %bb.21:                               ;   in Loop: Header=BB6_4 Depth=1
	v_mov_b32_e32 v3, s35
	v_add_co_u32_e32 v18, vcc, s34, v16
	v_addc_co_u32_e32 v19, vcc, v17, v3, vcc
	v_or_b32_e32 v3, s43, v19
	v_cmp_ne_u64_e32 vcc, 0, v[2:3]
                                        ; implicit-def: $vgpr8_vgpr9
	s_and_saveexec_b64 s[0:1], vcc
	s_xor_b64 s[4:5], exec, s[0:1]
	s_cbranch_execz .LBB6_23
; %bb.22:                               ;   in Loop: Header=BB6_4 Depth=1
	s_ashr_i32 s54, s43, 31
	s_add_u32 s0, s42, s54
	s_mov_b32 s55, s54
	s_addc_u32 s1, s43, s54
	s_xor_b64 s[56:57], s[0:1], s[54:55]
	v_cvt_f32_u32_e32 v3, s56
	v_cvt_f32_u32_e32 v8, s57
	s_sub_u32 s55, 0, s56
	s_subb_u32 s58, 0, s57
	v_mac_f32_e32 v3, 0x4f800000, v8
	v_rcp_f32_e32 v3, v3
	v_mul_f32_e32 v3, 0x5f7ffffc, v3
	v_mul_f32_e32 v8, 0x2f800000, v3
	v_trunc_f32_e32 v8, v8
	v_mac_f32_e32 v3, 0xcf800000, v8
	v_cvt_u32_f32_e32 v8, v8
	v_cvt_u32_f32_e32 v3, v3
	v_readfirstlane_b32 s59, v8
	v_readfirstlane_b32 s0, v3
	s_mul_i32 s1, s55, s59
	s_mul_hi_u32 s61, s55, s0
	s_mul_i32 s60, s58, s0
	s_add_i32 s1, s61, s1
	s_add_i32 s1, s1, s60
	s_mul_i32 s62, s55, s0
	s_mul_i32 s61, s0, s1
	s_mul_hi_u32 s63, s0, s62
	s_mul_hi_u32 s60, s0, s1
	s_add_u32 s61, s63, s61
	s_addc_u32 s60, 0, s60
	s_mul_hi_u32 s64, s59, s62
	s_mul_i32 s62, s59, s62
	s_add_u32 s61, s61, s62
	s_mul_hi_u32 s63, s59, s1
	s_addc_u32 s60, s60, s64
	s_addc_u32 s61, s63, 0
	s_mul_i32 s1, s59, s1
	s_add_u32 s1, s60, s1
	s_addc_u32 s60, 0, s61
	s_add_u32 s61, s0, s1
	s_cselect_b64 s[0:1], -1, 0
	s_cmp_lg_u64 s[0:1], 0
	s_addc_u32 s59, s59, s60
	s_mul_i32 s0, s55, s59
	s_mul_hi_u32 s1, s55, s61
	s_add_i32 s0, s1, s0
	s_mul_i32 s58, s58, s61
	s_add_i32 s0, s0, s58
	s_mul_i32 s55, s55, s61
	s_mul_hi_u32 s58, s59, s55
	s_mul_i32 s60, s59, s55
	s_mul_i32 s63, s61, s0
	s_mul_hi_u32 s55, s61, s55
	s_mul_hi_u32 s62, s61, s0
	s_add_u32 s55, s55, s63
	s_addc_u32 s62, 0, s62
	s_add_u32 s55, s55, s60
	s_mul_hi_u32 s1, s59, s0
	s_addc_u32 s55, s62, s58
	s_addc_u32 s1, s1, 0
	s_mul_i32 s0, s59, s0
	s_add_u32 s0, s55, s0
	s_addc_u32 s55, 0, s1
	s_add_u32 s58, s61, s0
	s_cselect_b64 s[0:1], -1, 0
	v_ashrrev_i32_e32 v3, 31, v19
	s_cmp_lg_u64 s[0:1], 0
	v_add_co_u32_e32 v8, vcc, v18, v3
	s_addc_u32 s55, s59, s55
	v_xor_b32_e32 v20, v8, v3
	v_addc_co_u32_e32 v18, vcc, v19, v3, vcc
	v_mad_u64_u32 v[8:9], s[0:1], v20, s55, 0
	v_mul_hi_u32 v19, v20, s58
	v_xor_b32_e32 v21, v18, v3
	v_xor_b32_e32 v3, s54, v3
	v_add_co_u32_e32 v22, vcc, v19, v8
	v_addc_co_u32_e32 v23, vcc, 0, v9, vcc
	v_mad_u64_u32 v[8:9], s[0:1], v21, s58, 0
	v_mad_u64_u32 v[18:19], s[0:1], v21, s55, 0
	v_add_co_u32_e32 v8, vcc, v22, v8
	v_addc_co_u32_e32 v8, vcc, v23, v9, vcc
	v_addc_co_u32_e32 v9, vcc, 0, v19, vcc
	v_add_co_u32_e32 v18, vcc, v8, v18
	v_addc_co_u32_e32 v19, vcc, 0, v9, vcc
	v_mul_lo_u32 v22, s57, v18
	v_mul_lo_u32 v23, s56, v19
	v_mad_u64_u32 v[8:9], s[0:1], s56, v18, 0
	v_add3_u32 v9, v9, v23, v22
	v_sub_u32_e32 v22, v21, v9
	v_mov_b32_e32 v23, s57
	v_sub_co_u32_e32 v8, vcc, v20, v8
	v_subb_co_u32_e64 v20, s[0:1], v22, v23, vcc
	v_subrev_co_u32_e64 v22, s[0:1], s56, v8
	v_subbrev_co_u32_e64 v20, s[0:1], 0, v20, s[0:1]
	v_cmp_le_u32_e64 s[0:1], s57, v20
	v_cndmask_b32_e64 v23, 0, -1, s[0:1]
	v_cmp_le_u32_e64 s[0:1], s56, v22
	v_cndmask_b32_e64 v22, 0, -1, s[0:1]
	v_cmp_eq_u32_e64 s[0:1], s57, v20
	v_cndmask_b32_e64 v20, v23, v22, s[0:1]
	v_add_co_u32_e64 v22, s[0:1], 2, v18
	v_subb_co_u32_e32 v9, vcc, v21, v9, vcc
	v_addc_co_u32_e64 v23, s[0:1], 0, v19, s[0:1]
	v_cmp_le_u32_e32 vcc, s57, v9
	v_add_co_u32_e64 v24, s[0:1], 1, v18
	v_cndmask_b32_e64 v21, 0, -1, vcc
	v_cmp_le_u32_e32 vcc, s56, v8
	v_addc_co_u32_e64 v25, s[0:1], 0, v19, s[0:1]
	v_cndmask_b32_e64 v8, 0, -1, vcc
	v_cmp_eq_u32_e32 vcc, s57, v9
	v_cmp_ne_u32_e64 s[0:1], 0, v20
	v_cndmask_b32_e32 v8, v21, v8, vcc
	v_cndmask_b32_e64 v20, v25, v23, s[0:1]
	v_cmp_ne_u32_e32 vcc, 0, v8
	v_cndmask_b32_e64 v9, v24, v22, s[0:1]
	v_cndmask_b32_e32 v8, v19, v20, vcc
	v_cndmask_b32_e32 v9, v18, v9, vcc
	v_xor_b32_e32 v18, v8, v3
	v_xor_b32_e32 v8, v9, v3
	v_sub_co_u32_e32 v8, vcc, v8, v3
	v_subb_co_u32_e32 v9, vcc, v18, v3, vcc
                                        ; implicit-def: $vgpr18
.LBB6_23:                               ;   in Loop: Header=BB6_4 Depth=1
	s_andn2_saveexec_b64 s[0:1], s[4:5]
	s_cbranch_execz .LBB6_25
; %bb.24:                               ;   in Loop: Header=BB6_4 Depth=1
	v_cvt_f32_u32_e32 v3, s42
	s_sub_i32 s4, 0, s42
	v_rcp_iflag_f32_e32 v3, v3
	v_mul_f32_e32 v3, 0x4f7ffffe, v3
	v_cvt_u32_f32_e32 v3, v3
	v_mul_lo_u32 v8, s4, v3
	v_mul_hi_u32 v8, v3, v8
	v_add_u32_e32 v3, v3, v8
	v_mul_hi_u32 v3, v18, v3
	v_mul_lo_u32 v8, v3, s42
	v_add_u32_e32 v9, 1, v3
	v_sub_u32_e32 v8, v18, v8
	v_subrev_u32_e32 v18, s42, v8
	v_cmp_le_u32_e32 vcc, s42, v8
	v_cndmask_b32_e32 v8, v8, v18, vcc
	v_cndmask_b32_e32 v3, v3, v9, vcc
	v_add_u32_e32 v9, 1, v3
	v_cmp_le_u32_e32 vcc, s42, v8
	v_cndmask_b32_e32 v8, v3, v9, vcc
	v_mov_b32_e32 v9, v2
.LBB6_25:                               ;   in Loop: Header=BB6_4 Depth=1
	s_or_b64 exec, exec, s[0:1]
	v_add_co_u32_e32 v8, vcc, 1, v8
	v_addc_co_u32_e32 v9, vcc, 0, v9, vcc
.LBB6_26:                               ;   in Loop: Header=BB6_4 Depth=1
	s_or_b64 exec, exec, s[2:3]
	v_or_b32_e32 v3, s43, v17
	v_cmp_ne_u64_e32 vcc, 0, v[2:3]
                                        ; implicit-def: $vgpr20_vgpr21
	s_and_saveexec_b64 s[0:1], vcc
	s_xor_b64 s[2:3], exec, s[0:1]
	s_cbranch_execz .LBB6_28
; %bb.27:                               ;   in Loop: Header=BB6_4 Depth=1
	s_ashr_i32 s4, s43, 31
	s_add_u32 s0, s42, s4
	s_mov_b32 s5, s4
	s_addc_u32 s1, s43, s4
	s_xor_b64 s[54:55], s[0:1], s[4:5]
	v_cvt_f32_u32_e32 v3, s54
	v_cvt_f32_u32_e32 v18, s55
	s_sub_u32 s5, 0, s54
	s_subb_u32 s56, 0, s55
	v_mac_f32_e32 v3, 0x4f800000, v18
	v_rcp_f32_e32 v3, v3
	v_mul_f32_e32 v3, 0x5f7ffffc, v3
	v_mul_f32_e32 v18, 0x2f800000, v3
	v_trunc_f32_e32 v18, v18
	v_mac_f32_e32 v3, 0xcf800000, v18
	v_cvt_u32_f32_e32 v18, v18
	v_cvt_u32_f32_e32 v3, v3
	v_readfirstlane_b32 s57, v18
	v_readfirstlane_b32 s0, v3
	s_mul_i32 s1, s5, s57
	s_mul_hi_u32 s59, s5, s0
	s_mul_i32 s58, s56, s0
	s_add_i32 s1, s59, s1
	s_add_i32 s1, s1, s58
	s_mul_i32 s60, s5, s0
	s_mul_i32 s59, s0, s1
	s_mul_hi_u32 s61, s0, s60
	s_mul_hi_u32 s58, s0, s1
	s_add_u32 s59, s61, s59
	s_addc_u32 s58, 0, s58
	s_mul_hi_u32 s62, s57, s60
	s_mul_i32 s60, s57, s60
	s_add_u32 s59, s59, s60
	s_mul_hi_u32 s61, s57, s1
	s_addc_u32 s58, s58, s62
	s_addc_u32 s59, s61, 0
	s_mul_i32 s1, s57, s1
	s_add_u32 s1, s58, s1
	s_addc_u32 s58, 0, s59
	s_add_u32 s59, s0, s1
	s_cselect_b64 s[0:1], -1, 0
	s_cmp_lg_u64 s[0:1], 0
	s_addc_u32 s57, s57, s58
	s_mul_i32 s0, s5, s57
	s_mul_hi_u32 s1, s5, s59
	s_add_i32 s0, s1, s0
	s_mul_i32 s56, s56, s59
	s_add_i32 s0, s0, s56
	s_mul_i32 s5, s5, s59
	s_mul_hi_u32 s56, s57, s5
	s_mul_i32 s58, s57, s5
	s_mul_i32 s61, s59, s0
	s_mul_hi_u32 s5, s59, s5
	s_mul_hi_u32 s60, s59, s0
	s_add_u32 s5, s5, s61
	s_addc_u32 s60, 0, s60
	s_add_u32 s5, s5, s58
	s_mul_hi_u32 s1, s57, s0
	s_addc_u32 s5, s60, s56
	s_addc_u32 s1, s1, 0
	s_mul_i32 s0, s57, s0
	s_add_u32 s0, s5, s0
	s_addc_u32 s5, 0, s1
	s_add_u32 s56, s59, s0
	s_cselect_b64 s[0:1], -1, 0
	v_ashrrev_i32_e32 v3, 31, v17
	s_cmp_lg_u64 s[0:1], 0
	v_add_co_u32_e32 v16, vcc, v16, v3
	s_addc_u32 s5, s57, s5
	v_xor_b32_e32 v20, v16, v3
	v_addc_co_u32_e32 v18, vcc, v17, v3, vcc
	v_mad_u64_u32 v[16:17], s[0:1], v20, s5, 0
	v_mul_hi_u32 v19, v20, s56
	v_xor_b32_e32 v21, v18, v3
	v_xor_b32_e32 v3, s4, v3
	v_add_co_u32_e32 v22, vcc, v19, v16
	v_addc_co_u32_e32 v23, vcc, 0, v17, vcc
	v_mad_u64_u32 v[16:17], s[0:1], v21, s56, 0
	v_mad_u64_u32 v[18:19], s[0:1], v21, s5, 0
	v_add_co_u32_e32 v16, vcc, v22, v16
	v_addc_co_u32_e32 v16, vcc, v23, v17, vcc
	v_addc_co_u32_e32 v17, vcc, 0, v19, vcc
	v_add_co_u32_e32 v18, vcc, v16, v18
	v_addc_co_u32_e32 v19, vcc, 0, v17, vcc
	v_mul_lo_u32 v22, s55, v18
	v_mul_lo_u32 v23, s54, v19
	v_mad_u64_u32 v[16:17], s[0:1], s54, v18, 0
	v_add3_u32 v17, v17, v23, v22
	v_sub_u32_e32 v22, v21, v17
	v_mov_b32_e32 v23, s55
	v_sub_co_u32_e32 v16, vcc, v20, v16
	v_subb_co_u32_e64 v20, s[0:1], v22, v23, vcc
	v_subrev_co_u32_e64 v22, s[0:1], s54, v16
	v_subbrev_co_u32_e64 v20, s[0:1], 0, v20, s[0:1]
	v_cmp_le_u32_e64 s[0:1], s55, v20
	v_cndmask_b32_e64 v23, 0, -1, s[0:1]
	v_cmp_le_u32_e64 s[0:1], s54, v22
	v_cndmask_b32_e64 v22, 0, -1, s[0:1]
	v_cmp_eq_u32_e64 s[0:1], s55, v20
	v_cndmask_b32_e64 v20, v23, v22, s[0:1]
	v_add_co_u32_e64 v22, s[0:1], 2, v18
	v_subb_co_u32_e32 v17, vcc, v21, v17, vcc
	v_addc_co_u32_e64 v23, s[0:1], 0, v19, s[0:1]
	v_cmp_le_u32_e32 vcc, s55, v17
	v_add_co_u32_e64 v24, s[0:1], 1, v18
	v_cndmask_b32_e64 v21, 0, -1, vcc
	v_cmp_le_u32_e32 vcc, s54, v16
	v_addc_co_u32_e64 v25, s[0:1], 0, v19, s[0:1]
	v_cndmask_b32_e64 v16, 0, -1, vcc
	v_cmp_eq_u32_e32 vcc, s55, v17
	v_cmp_ne_u32_e64 s[0:1], 0, v20
	v_cndmask_b32_e32 v16, v21, v16, vcc
	v_cmp_ne_u32_e32 vcc, 0, v16
	v_cndmask_b32_e64 v17, v24, v22, s[0:1]
	v_cndmask_b32_e64 v20, v25, v23, s[0:1]
	v_cndmask_b32_e32 v17, v18, v17, vcc
	v_cndmask_b32_e32 v16, v19, v20, vcc
	v_xor_b32_e32 v17, v17, v3
	v_xor_b32_e32 v16, v16, v3
	v_sub_co_u32_e32 v20, vcc, v17, v3
	v_subb_co_u32_e32 v21, vcc, v16, v3, vcc
                                        ; implicit-def: $vgpr16
.LBB6_28:                               ;   in Loop: Header=BB6_4 Depth=1
	s_andn2_saveexec_b64 s[0:1], s[2:3]
	s_cbranch_execz .LBB6_30
; %bb.29:                               ;   in Loop: Header=BB6_4 Depth=1
	v_cvt_f32_u32_e32 v3, s42
	s_sub_i32 s2, 0, s42
	v_mov_b32_e32 v21, v2
	v_rcp_iflag_f32_e32 v3, v3
	v_mul_f32_e32 v3, 0x4f7ffffe, v3
	v_cvt_u32_f32_e32 v3, v3
	v_mul_lo_u32 v17, s2, v3
	v_mul_hi_u32 v17, v3, v17
	v_add_u32_e32 v3, v3, v17
	v_mul_hi_u32 v3, v16, v3
	v_mul_lo_u32 v17, v3, s42
	v_add_u32_e32 v18, 1, v3
	v_sub_u32_e32 v16, v16, v17
	v_subrev_u32_e32 v17, s42, v16
	v_cmp_le_u32_e32 vcc, s42, v16
	v_cndmask_b32_e32 v16, v16, v17, vcc
	v_cndmask_b32_e32 v3, v3, v18, vcc
	v_add_u32_e32 v17, 1, v3
	v_cmp_le_u32_e32 vcc, s42, v16
	v_cndmask_b32_e32 v20, v3, v17, vcc
.LBB6_30:                               ;   in Loop: Header=BB6_4 Depth=1
	s_or_b64 exec, exec, s[0:1]
	v_mov_b32_e32 v3, s37
	v_add_co_u32_e32 v10, vcc, s36, v10
	v_addc_co_u32_e32 v11, vcc, v11, v3, vcc
	v_cmp_lt_i64_e32 vcc, s[28:29], v[10:11]
	v_mov_b32_e32 v16, 0
	v_mov_b32_e32 v17, 0
	s_and_saveexec_b64 s[2:3], vcc
	s_cbranch_execz .LBB6_36
; %bb.31:                               ;   in Loop: Header=BB6_4 Depth=1
	v_mov_b32_e32 v3, s31
	v_add_co_u32_e32 v18, vcc, s30, v10
	v_addc_co_u32_e32 v19, vcc, v11, v3, vcc
	v_or_b32_e32 v3, s41, v19
	v_cmp_ne_u64_e32 vcc, 0, v[2:3]
                                        ; implicit-def: $vgpr16_vgpr17
	s_and_saveexec_b64 s[0:1], vcc
	s_xor_b64 s[4:5], exec, s[0:1]
	s_cbranch_execz .LBB6_33
; %bb.32:                               ;   in Loop: Header=BB6_4 Depth=1
	s_ashr_i32 s54, s41, 31
	s_add_u32 s0, s40, s54
	s_mov_b32 s55, s54
	s_addc_u32 s1, s41, s54
	s_xor_b64 s[56:57], s[0:1], s[54:55]
	v_cvt_f32_u32_e32 v3, s56
	v_cvt_f32_u32_e32 v16, s57
	s_sub_u32 s55, 0, s56
	s_subb_u32 s58, 0, s57
	v_mac_f32_e32 v3, 0x4f800000, v16
	v_rcp_f32_e32 v3, v3
	v_mul_f32_e32 v3, 0x5f7ffffc, v3
	v_mul_f32_e32 v16, 0x2f800000, v3
	v_trunc_f32_e32 v16, v16
	v_mac_f32_e32 v3, 0xcf800000, v16
	v_cvt_u32_f32_e32 v16, v16
	v_cvt_u32_f32_e32 v3, v3
	v_readfirstlane_b32 s59, v16
	v_readfirstlane_b32 s0, v3
	s_mul_i32 s1, s55, s59
	s_mul_hi_u32 s61, s55, s0
	s_mul_i32 s60, s58, s0
	s_add_i32 s1, s61, s1
	s_add_i32 s1, s1, s60
	s_mul_i32 s62, s55, s0
	s_mul_i32 s61, s0, s1
	s_mul_hi_u32 s63, s0, s62
	s_mul_hi_u32 s60, s0, s1
	s_add_u32 s61, s63, s61
	s_addc_u32 s60, 0, s60
	s_mul_hi_u32 s64, s59, s62
	s_mul_i32 s62, s59, s62
	s_add_u32 s61, s61, s62
	s_mul_hi_u32 s63, s59, s1
	s_addc_u32 s60, s60, s64
	s_addc_u32 s61, s63, 0
	s_mul_i32 s1, s59, s1
	s_add_u32 s1, s60, s1
	s_addc_u32 s60, 0, s61
	s_add_u32 s61, s0, s1
	s_cselect_b64 s[0:1], -1, 0
	s_cmp_lg_u64 s[0:1], 0
	s_addc_u32 s59, s59, s60
	s_mul_i32 s0, s55, s59
	s_mul_hi_u32 s1, s55, s61
	s_add_i32 s0, s1, s0
	s_mul_i32 s58, s58, s61
	s_add_i32 s0, s0, s58
	s_mul_i32 s55, s55, s61
	s_mul_hi_u32 s58, s59, s55
	s_mul_i32 s60, s59, s55
	s_mul_i32 s63, s61, s0
	s_mul_hi_u32 s55, s61, s55
	s_mul_hi_u32 s62, s61, s0
	s_add_u32 s55, s55, s63
	s_addc_u32 s62, 0, s62
	s_add_u32 s55, s55, s60
	s_mul_hi_u32 s1, s59, s0
	s_addc_u32 s55, s62, s58
	s_addc_u32 s1, s1, 0
	s_mul_i32 s0, s59, s0
	s_add_u32 s0, s55, s0
	s_addc_u32 s55, 0, s1
	s_add_u32 s58, s61, s0
	s_cselect_b64 s[0:1], -1, 0
	v_ashrrev_i32_e32 v3, 31, v19
	s_cmp_lg_u64 s[0:1], 0
	v_add_co_u32_e32 v16, vcc, v18, v3
	s_addc_u32 s55, s59, s55
	v_xor_b32_e32 v22, v16, v3
	v_addc_co_u32_e32 v18, vcc, v19, v3, vcc
	v_mad_u64_u32 v[16:17], s[0:1], v22, s55, 0
	v_mul_hi_u32 v19, v22, s58
	v_xor_b32_e32 v23, v18, v3
	v_xor_b32_e32 v3, s54, v3
	v_add_co_u32_e32 v24, vcc, v19, v16
	v_addc_co_u32_e32 v25, vcc, 0, v17, vcc
	v_mad_u64_u32 v[16:17], s[0:1], v23, s58, 0
	v_mad_u64_u32 v[18:19], s[0:1], v23, s55, 0
	v_add_co_u32_e32 v16, vcc, v24, v16
	v_addc_co_u32_e32 v16, vcc, v25, v17, vcc
	v_addc_co_u32_e32 v17, vcc, 0, v19, vcc
	v_add_co_u32_e32 v18, vcc, v16, v18
	v_addc_co_u32_e32 v19, vcc, 0, v17, vcc
	v_mul_lo_u32 v24, s57, v18
	v_mul_lo_u32 v25, s56, v19
	v_mad_u64_u32 v[16:17], s[0:1], s56, v18, 0
	v_add3_u32 v17, v17, v25, v24
	v_sub_u32_e32 v24, v23, v17
	v_mov_b32_e32 v25, s57
	v_sub_co_u32_e32 v16, vcc, v22, v16
	v_subb_co_u32_e64 v22, s[0:1], v24, v25, vcc
	v_subrev_co_u32_e64 v24, s[0:1], s56, v16
	v_subbrev_co_u32_e64 v22, s[0:1], 0, v22, s[0:1]
	v_cmp_le_u32_e64 s[0:1], s57, v22
	v_cndmask_b32_e64 v25, 0, -1, s[0:1]
	v_cmp_le_u32_e64 s[0:1], s56, v24
	v_cndmask_b32_e64 v24, 0, -1, s[0:1]
	v_cmp_eq_u32_e64 s[0:1], s57, v22
	v_cndmask_b32_e64 v22, v25, v24, s[0:1]
	v_add_co_u32_e64 v24, s[0:1], 2, v18
	v_subb_co_u32_e32 v17, vcc, v23, v17, vcc
	v_addc_co_u32_e64 v25, s[0:1], 0, v19, s[0:1]
	v_cmp_le_u32_e32 vcc, s57, v17
	v_add_co_u32_e64 v26, s[0:1], 1, v18
	v_cndmask_b32_e64 v23, 0, -1, vcc
	v_cmp_le_u32_e32 vcc, s56, v16
	v_addc_co_u32_e64 v27, s[0:1], 0, v19, s[0:1]
	v_cndmask_b32_e64 v16, 0, -1, vcc
	v_cmp_eq_u32_e32 vcc, s57, v17
	v_cmp_ne_u32_e64 s[0:1], 0, v22
	v_cndmask_b32_e32 v16, v23, v16, vcc
	v_cndmask_b32_e64 v22, v27, v25, s[0:1]
	v_cmp_ne_u32_e32 vcc, 0, v16
	v_cndmask_b32_e64 v17, v26, v24, s[0:1]
	v_cndmask_b32_e32 v16, v19, v22, vcc
	v_cndmask_b32_e32 v17, v18, v17, vcc
	v_xor_b32_e32 v18, v16, v3
	v_xor_b32_e32 v16, v17, v3
	v_sub_co_u32_e32 v16, vcc, v16, v3
	v_subb_co_u32_e32 v17, vcc, v18, v3, vcc
                                        ; implicit-def: $vgpr18
.LBB6_33:                               ;   in Loop: Header=BB6_4 Depth=1
	s_andn2_saveexec_b64 s[0:1], s[4:5]
	s_cbranch_execz .LBB6_35
; %bb.34:                               ;   in Loop: Header=BB6_4 Depth=1
	v_cvt_f32_u32_e32 v3, s40
	s_sub_i32 s4, 0, s40
	v_rcp_iflag_f32_e32 v3, v3
	v_mul_f32_e32 v3, 0x4f7ffffe, v3
	v_cvt_u32_f32_e32 v3, v3
	v_mul_lo_u32 v16, s4, v3
	v_mul_hi_u32 v16, v3, v16
	v_add_u32_e32 v3, v3, v16
	v_mul_hi_u32 v3, v18, v3
	v_mul_lo_u32 v16, v3, s40
	v_add_u32_e32 v17, 1, v3
	v_sub_u32_e32 v16, v18, v16
	v_subrev_u32_e32 v18, s40, v16
	v_cmp_le_u32_e32 vcc, s40, v16
	v_cndmask_b32_e32 v16, v16, v18, vcc
	v_cndmask_b32_e32 v3, v3, v17, vcc
	v_add_u32_e32 v17, 1, v3
	v_cmp_le_u32_e32 vcc, s40, v16
	v_cndmask_b32_e32 v16, v3, v17, vcc
	v_mov_b32_e32 v17, v2
.LBB6_35:                               ;   in Loop: Header=BB6_4 Depth=1
	s_or_b64 exec, exec, s[0:1]
	v_add_co_u32_e32 v16, vcc, 1, v16
	v_addc_co_u32_e32 v17, vcc, 0, v17, vcc
.LBB6_36:                               ;   in Loop: Header=BB6_4 Depth=1
	s_or_b64 exec, exec, s[2:3]
	v_or_b32_e32 v3, s41, v11
	v_cmp_ne_u64_e32 vcc, 0, v[2:3]
                                        ; implicit-def: $vgpr18_vgpr19
	s_and_saveexec_b64 s[0:1], vcc
	s_xor_b64 s[2:3], exec, s[0:1]
	s_cbranch_execz .LBB6_38
; %bb.37:                               ;   in Loop: Header=BB6_4 Depth=1
	s_ashr_i32 s4, s41, 31
	s_add_u32 s0, s40, s4
	s_mov_b32 s5, s4
	s_addc_u32 s1, s41, s4
	s_xor_b64 s[54:55], s[0:1], s[4:5]
	v_cvt_f32_u32_e32 v3, s54
	v_cvt_f32_u32_e32 v18, s55
	s_sub_u32 s5, 0, s54
	s_subb_u32 s56, 0, s55
	v_mac_f32_e32 v3, 0x4f800000, v18
	v_rcp_f32_e32 v3, v3
	v_mul_f32_e32 v3, 0x5f7ffffc, v3
	v_mul_f32_e32 v18, 0x2f800000, v3
	v_trunc_f32_e32 v18, v18
	v_mac_f32_e32 v3, 0xcf800000, v18
	v_cvt_u32_f32_e32 v18, v18
	v_cvt_u32_f32_e32 v3, v3
	v_readfirstlane_b32 s57, v18
	v_readfirstlane_b32 s0, v3
	s_mul_i32 s1, s5, s57
	s_mul_hi_u32 s59, s5, s0
	s_mul_i32 s58, s56, s0
	s_add_i32 s1, s59, s1
	s_add_i32 s1, s1, s58
	s_mul_i32 s60, s5, s0
	s_mul_i32 s59, s0, s1
	s_mul_hi_u32 s61, s0, s60
	s_mul_hi_u32 s58, s0, s1
	s_add_u32 s59, s61, s59
	s_addc_u32 s58, 0, s58
	s_mul_hi_u32 s62, s57, s60
	s_mul_i32 s60, s57, s60
	s_add_u32 s59, s59, s60
	s_mul_hi_u32 s61, s57, s1
	s_addc_u32 s58, s58, s62
	s_addc_u32 s59, s61, 0
	s_mul_i32 s1, s57, s1
	s_add_u32 s1, s58, s1
	s_addc_u32 s58, 0, s59
	s_add_u32 s59, s0, s1
	s_cselect_b64 s[0:1], -1, 0
	s_cmp_lg_u64 s[0:1], 0
	s_addc_u32 s57, s57, s58
	s_mul_i32 s0, s5, s57
	s_mul_hi_u32 s1, s5, s59
	s_add_i32 s0, s1, s0
	s_mul_i32 s56, s56, s59
	s_add_i32 s0, s0, s56
	s_mul_i32 s5, s5, s59
	s_mul_hi_u32 s56, s57, s5
	s_mul_i32 s58, s57, s5
	s_mul_i32 s61, s59, s0
	s_mul_hi_u32 s5, s59, s5
	s_mul_hi_u32 s60, s59, s0
	s_add_u32 s5, s5, s61
	s_addc_u32 s60, 0, s60
	s_add_u32 s5, s5, s58
	s_mul_hi_u32 s1, s57, s0
	s_addc_u32 s5, s60, s56
	s_addc_u32 s1, s1, 0
	s_mul_i32 s0, s57, s0
	s_add_u32 s0, s5, s0
	s_addc_u32 s5, 0, s1
	s_add_u32 s56, s59, s0
	s_cselect_b64 s[0:1], -1, 0
	v_ashrrev_i32_e32 v3, 31, v11
	s_cmp_lg_u64 s[0:1], 0
	v_add_co_u32_e32 v18, vcc, v10, v3
	s_addc_u32 s5, s57, s5
	v_xor_b32_e32 v24, v18, v3
	v_mad_u64_u32 v[18:19], s[0:1], v24, s5, 0
	v_mul_hi_u32 v23, v24, s56
	v_addc_co_u32_e32 v22, vcc, v11, v3, vcc
	v_xor_b32_e32 v25, v22, v3
	v_add_co_u32_e32 v26, vcc, v23, v18
	v_addc_co_u32_e32 v27, vcc, 0, v19, vcc
	v_mad_u64_u32 v[18:19], s[0:1], v25, s56, 0
	v_mad_u64_u32 v[22:23], s[0:1], v25, s5, 0
	v_add_co_u32_e32 v18, vcc, v26, v18
	v_addc_co_u32_e32 v18, vcc, v27, v19, vcc
	v_addc_co_u32_e32 v19, vcc, 0, v23, vcc
	v_add_co_u32_e32 v22, vcc, v18, v22
	v_addc_co_u32_e32 v23, vcc, 0, v19, vcc
	v_mul_lo_u32 v26, s55, v22
	v_mul_lo_u32 v27, s54, v23
	v_mad_u64_u32 v[18:19], s[0:1], s54, v22, 0
	v_xor_b32_e32 v3, s4, v3
	v_add3_u32 v19, v19, v27, v26
	v_sub_u32_e32 v26, v25, v19
	v_mov_b32_e32 v27, s55
	v_sub_co_u32_e32 v18, vcc, v24, v18
	v_subb_co_u32_e64 v24, s[0:1], v26, v27, vcc
	v_subrev_co_u32_e64 v26, s[0:1], s54, v18
	v_subbrev_co_u32_e64 v24, s[0:1], 0, v24, s[0:1]
	v_cmp_le_u32_e64 s[0:1], s55, v24
	v_cndmask_b32_e64 v27, 0, -1, s[0:1]
	v_cmp_le_u32_e64 s[0:1], s54, v26
	v_cndmask_b32_e64 v26, 0, -1, s[0:1]
	v_cmp_eq_u32_e64 s[0:1], s55, v24
	v_cndmask_b32_e64 v24, v27, v26, s[0:1]
	v_add_co_u32_e64 v26, s[0:1], 2, v22
	v_subb_co_u32_e32 v19, vcc, v25, v19, vcc
	v_addc_co_u32_e64 v27, s[0:1], 0, v23, s[0:1]
	v_cmp_le_u32_e32 vcc, s55, v19
	v_add_co_u32_e64 v28, s[0:1], 1, v22
	v_cndmask_b32_e64 v25, 0, -1, vcc
	v_cmp_le_u32_e32 vcc, s54, v18
	v_addc_co_u32_e64 v29, s[0:1], 0, v23, s[0:1]
	v_cndmask_b32_e64 v18, 0, -1, vcc
	v_cmp_eq_u32_e32 vcc, s55, v19
	v_cmp_ne_u32_e64 s[0:1], 0, v24
	v_cndmask_b32_e32 v18, v25, v18, vcc
	v_cndmask_b32_e64 v24, v29, v27, s[0:1]
	v_cmp_ne_u32_e32 vcc, 0, v18
	v_cndmask_b32_e64 v19, v28, v26, s[0:1]
	v_cndmask_b32_e32 v18, v23, v24, vcc
	v_cndmask_b32_e32 v19, v22, v19, vcc
	v_xor_b32_e32 v22, v18, v3
	v_xor_b32_e32 v18, v19, v3
	v_sub_co_u32_e32 v18, vcc, v18, v3
	v_subb_co_u32_e32 v19, vcc, v22, v3, vcc
.LBB6_38:                               ;   in Loop: Header=BB6_4 Depth=1
	s_andn2_saveexec_b64 s[0:1], s[2:3]
	s_cbranch_execz .LBB6_40
; %bb.39:                               ;   in Loop: Header=BB6_4 Depth=1
	v_cvt_f32_u32_e32 v3, s40
	s_sub_i32 s2, 0, s40
	v_rcp_iflag_f32_e32 v3, v3
	v_mul_f32_e32 v3, 0x4f7ffffe, v3
	v_cvt_u32_f32_e32 v3, v3
	v_mul_lo_u32 v18, s2, v3
	v_mul_hi_u32 v18, v3, v18
	v_add_u32_e32 v3, v3, v18
	v_mul_hi_u32 v3, v10, v3
	v_mul_lo_u32 v18, v3, s40
	v_add_u32_e32 v19, 1, v3
	v_sub_u32_e32 v18, v10, v18
	v_subrev_u32_e32 v22, s40, v18
	v_cmp_le_u32_e32 vcc, s40, v18
	v_cndmask_b32_e32 v18, v18, v22, vcc
	v_cndmask_b32_e32 v3, v3, v19, vcc
	v_add_u32_e32 v19, 1, v3
	v_cmp_le_u32_e32 vcc, s40, v18
	v_cndmask_b32_e32 v18, v3, v19, vcc
	v_mov_b32_e32 v19, v2
.LBB6_40:                               ;   in Loop: Header=BB6_4 Depth=1
	s_or_b64 exec, exec, s[0:1]
	v_add_co_u32_e32 v18, vcc, 1, v18
	v_addc_co_u32_e32 v19, vcc, 0, v19, vcc
	v_cmp_gt_i64_e32 vcc, s[48:49], v[18:19]
	v_mov_b32_e32 v3, s49
	v_cndmask_b32_e32 v19, v3, v19, vcc
	v_mov_b32_e32 v3, s48
	v_cndmask_b32_e32 v18, v3, v18, vcc
	v_cmp_lt_i64_e32 vcc, v[16:17], v[18:19]
	s_mov_b64 s[0:1], 0
	s_and_saveexec_b64 s[54:55], vcc
	s_cbranch_execz .LBB6_3
; %bb.41:                               ;   in Loop: Header=BB6_4 Depth=1
	v_mov_b32_e32 v23, s11
	v_mov_b32_e32 v22, s10
	v_mad_u64_u32 v[22:23], s[0:1], v4, s12, v[22:23]
	v_mul_lo_u32 v24, v4, s13
	v_mul_lo_u32 v25, v5, s12
	;; [unrolled: 1-line block ×4, first 2 shown]
	v_mad_u64_u32 v[12:13], s[0:1], v12, s20, 0
	v_add_co_u32_e32 v20, vcc, 1, v20
	v_addc_co_u32_e32 v21, vcc, 0, v21, vcc
	v_cmp_gt_i64_e32 vcc, s[50:51], v[20:21]
	v_mov_b32_e32 v3, s51
	v_add3_u32 v23, v25, v23, v24
	v_add3_u32 v13, v13, v27, v26
	v_mul_lo_u32 v26, s43, v8
	v_mul_lo_u32 v27, s42, v9
	v_mad_u64_u32 v[24:25], s[2:3], s42, v8, 0
	v_cndmask_b32_e32 v21, v3, v21, vcc
	v_mov_b32_e32 v3, s50
	v_cndmask_b32_e32 v20, v3, v20, vcc
	v_mov_b32_e32 v3, s39
	v_add_co_u32_e32 v28, vcc, s38, v0
	v_addc_co_u32_e32 v3, vcc, v3, v1, vcc
	v_add3_u32 v25, v25, v27, v26
	v_sub_co_u32_e32 v24, vcc, v28, v24
	v_subb_co_u32_e32 v3, vcc, v3, v25, vcc
	v_sub_co_u32_e32 v14, vcc, v24, v14
	v_subb_co_u32_e32 v3, vcc, v3, v15, vcc
	v_cmp_lt_i64_e64 s[0:1], v[8:9], v[20:21]
	v_sub_co_u32_e32 v6, vcc, v14, v6
	v_subb_co_u32_e32 v7, vcc, v3, v7, vcc
	s_mov_b64 s[62:63], 0
	s_mov_b64 s[56:57], 0
                                        ; implicit-def: $sgpr58_sgpr59
                                        ; implicit-def: $sgpr60_sgpr61
	s_branch .LBB6_44
.LBB6_42:                               ;   in Loop: Header=BB6_44 Depth=2
	s_or_b64 exec, exec, s[66:67]
	s_andn2_b64 s[2:3], s[60:61], exec
	s_and_b64 s[4:5], s[68:69], exec
	s_or_b64 s[60:61], s[2:3], s[4:5]
.LBB6_43:                               ;   in Loop: Header=BB6_44 Depth=2
	s_or_b64 exec, exec, s[64:65]
	v_add_co_u32_e32 v16, vcc, 1, v16
	v_addc_co_u32_e32 v17, vcc, 0, v17, vcc
	v_cmp_ge_i64_e32 vcc, v[16:17], v[18:19]
	s_mov_b64 s[62:63], s[60:61]
	s_or_b64 s[56:57], vcc, s[56:57]
	s_andn2_b64 s[2:3], s[58:59], exec
	s_and_b64 s[4:5], s[60:61], exec
	s_or_b64 s[58:59], s[2:3], s[4:5]
	s_andn2_b64 exec, exec, s[56:57]
	s_cbranch_execz .LBB6_2
.LBB6_44:                               ;   Parent Loop BB6_4 Depth=1
                                        ; =>  This Loop Header: Depth=2
                                        ;       Child Loop BB6_52 Depth 3
	s_andn2_b64 s[2:3], s[60:61], exec
	s_and_b64 s[4:5], s[62:63], exec
	s_or_b64 s[60:61], s[2:3], s[4:5]
	s_and_saveexec_b64 s[64:65], s[0:1]
	s_cbranch_execz .LBB6_43
; %bb.45:                               ;   in Loop: Header=BB6_44 Depth=2
	v_mul_lo_u32 v3, v17, s40
	v_mul_lo_u32 v24, v16, s41
	v_mad_u64_u32 v[14:15], s[2:3], v16, s40, 0
	v_add3_u32 v3, v15, v24, v3
	v_sub_co_u32_e32 v24, vcc, v10, v14
	v_subb_co_u32_e32 v25, vcc, v11, v3, vcc
	v_or_b32_e32 v3, s45, v25
	v_cmp_ne_u64_e32 vcc, 0, v[2:3]
                                        ; implicit-def: $vgpr14_vgpr15
	s_and_saveexec_b64 s[2:3], vcc
	s_xor_b64 s[4:5], exec, s[2:3]
	s_cbranch_execz .LBB6_47
; %bb.46:                               ;   in Loop: Header=BB6_44 Depth=2
	s_ashr_i32 s66, s45, 31
	s_add_u32 s2, s44, s66
	s_mov_b32 s67, s66
	s_addc_u32 s3, s45, s66
	s_xor_b64 s[68:69], s[2:3], s[66:67]
	v_cvt_f32_u32_e32 v3, s68
	v_cvt_f32_u32_e32 v14, s69
	s_sub_u32 s67, 0, s68
	s_subb_u32 s70, 0, s69
	v_mac_f32_e32 v3, 0x4f800000, v14
	v_rcp_f32_e32 v3, v3
	v_mul_f32_e32 v3, 0x5f7ffffc, v3
	v_mul_f32_e32 v14, 0x2f800000, v3
	v_trunc_f32_e32 v14, v14
	v_mac_f32_e32 v3, 0xcf800000, v14
	v_cvt_u32_f32_e32 v14, v14
	v_cvt_u32_f32_e32 v3, v3
	v_readfirstlane_b32 s71, v14
	v_readfirstlane_b32 s2, v3
	s_mul_i32 s3, s67, s71
	s_mul_hi_u32 s73, s67, s2
	s_mul_i32 s72, s70, s2
	s_add_i32 s3, s73, s3
	s_add_i32 s3, s3, s72
	s_mul_i32 s74, s67, s2
	s_mul_i32 s73, s2, s3
	s_mul_hi_u32 s75, s2, s74
	s_mul_hi_u32 s72, s2, s3
	s_add_u32 s73, s75, s73
	s_addc_u32 s72, 0, s72
	s_mul_hi_u32 s76, s71, s74
	s_mul_i32 s74, s71, s74
	s_add_u32 s73, s73, s74
	s_mul_hi_u32 s75, s71, s3
	s_addc_u32 s72, s72, s76
	s_addc_u32 s73, s75, 0
	s_mul_i32 s3, s71, s3
	s_add_u32 s3, s72, s3
	s_addc_u32 s72, 0, s73
	s_add_u32 s73, s2, s3
	s_cselect_b64 s[2:3], -1, 0
	s_cmp_lg_u64 s[2:3], 0
	s_addc_u32 s71, s71, s72
	s_mul_i32 s2, s67, s71
	s_mul_hi_u32 s3, s67, s73
	s_add_i32 s2, s3, s2
	s_mul_i32 s70, s70, s73
	s_add_i32 s2, s2, s70
	s_mul_i32 s67, s67, s73
	s_mul_hi_u32 s70, s71, s67
	s_mul_i32 s72, s71, s67
	s_mul_i32 s75, s73, s2
	s_mul_hi_u32 s67, s73, s67
	s_mul_hi_u32 s74, s73, s2
	s_add_u32 s67, s67, s75
	s_addc_u32 s74, 0, s74
	s_add_u32 s67, s67, s72
	s_mul_hi_u32 s3, s71, s2
	s_addc_u32 s67, s74, s70
	s_addc_u32 s3, s3, 0
	s_mul_i32 s2, s71, s2
	s_add_u32 s2, s67, s2
	s_addc_u32 s67, 0, s3
	s_add_u32 s70, s73, s2
	s_cselect_b64 s[2:3], -1, 0
	v_ashrrev_i32_e32 v3, 31, v25
	s_cmp_lg_u64 s[2:3], 0
	v_add_co_u32_e32 v14, vcc, v24, v3
	s_addc_u32 s67, s71, s67
	v_xor_b32_e32 v28, v14, v3
	v_mad_u64_u32 v[14:15], s[2:3], v28, s67, 0
	v_mul_hi_u32 v27, v28, s70
	v_addc_co_u32_e32 v26, vcc, v25, v3, vcc
	v_xor_b32_e32 v29, v26, v3
	v_add_co_u32_e32 v32, vcc, v27, v14
	v_addc_co_u32_e32 v33, vcc, 0, v15, vcc
	v_mad_u64_u32 v[14:15], s[2:3], v29, s70, 0
	v_mad_u64_u32 v[26:27], s[2:3], v29, s67, 0
	v_add_co_u32_e32 v14, vcc, v32, v14
	v_addc_co_u32_e32 v14, vcc, v33, v15, vcc
	v_addc_co_u32_e32 v15, vcc, 0, v27, vcc
	v_add_co_u32_e32 v26, vcc, v14, v26
	v_addc_co_u32_e32 v27, vcc, 0, v15, vcc
	v_mul_lo_u32 v32, s69, v26
	v_mul_lo_u32 v33, s68, v27
	v_mad_u64_u32 v[14:15], s[2:3], s68, v26, 0
	v_xor_b32_e32 v3, s66, v3
	v_add3_u32 v15, v15, v33, v32
	v_sub_u32_e32 v32, v29, v15
	v_mov_b32_e32 v33, s69
	v_sub_co_u32_e32 v14, vcc, v28, v14
	v_subb_co_u32_e64 v28, s[2:3], v32, v33, vcc
	v_subrev_co_u32_e64 v32, s[2:3], s68, v14
	v_subbrev_co_u32_e64 v28, s[2:3], 0, v28, s[2:3]
	v_cmp_le_u32_e64 s[2:3], s69, v28
	v_cndmask_b32_e64 v33, 0, -1, s[2:3]
	v_cmp_le_u32_e64 s[2:3], s68, v32
	v_cndmask_b32_e64 v32, 0, -1, s[2:3]
	v_cmp_eq_u32_e64 s[2:3], s69, v28
	v_cndmask_b32_e64 v28, v33, v32, s[2:3]
	v_add_co_u32_e64 v32, s[2:3], 2, v26
	v_subb_co_u32_e32 v15, vcc, v29, v15, vcc
	v_addc_co_u32_e64 v33, s[2:3], 0, v27, s[2:3]
	v_cmp_le_u32_e32 vcc, s69, v15
	v_add_co_u32_e64 v34, s[2:3], 1, v26
	v_cndmask_b32_e64 v29, 0, -1, vcc
	v_cmp_le_u32_e32 vcc, s68, v14
	v_addc_co_u32_e64 v35, s[2:3], 0, v27, s[2:3]
	v_cndmask_b32_e64 v14, 0, -1, vcc
	v_cmp_eq_u32_e32 vcc, s69, v15
	v_cmp_ne_u32_e64 s[2:3], 0, v28
	v_cndmask_b32_e32 v14, v29, v14, vcc
	v_cndmask_b32_e64 v28, v35, v33, s[2:3]
	v_cmp_ne_u32_e32 vcc, 0, v14
	v_cndmask_b32_e64 v15, v34, v32, s[2:3]
	v_cndmask_b32_e32 v14, v27, v28, vcc
	v_cndmask_b32_e32 v15, v26, v15, vcc
	v_xor_b32_e32 v26, v14, v3
	v_xor_b32_e32 v14, v15, v3
	v_sub_co_u32_e32 v14, vcc, v14, v3
	v_subb_co_u32_e32 v15, vcc, v26, v3, vcc
.LBB6_47:                               ;   in Loop: Header=BB6_44 Depth=2
	s_andn2_saveexec_b64 s[2:3], s[4:5]
	s_cbranch_execz .LBB6_49
; %bb.48:                               ;   in Loop: Header=BB6_44 Depth=2
	v_cvt_f32_u32_e32 v3, s44
	s_sub_i32 s4, 0, s44
	v_rcp_iflag_f32_e32 v3, v3
	v_mul_f32_e32 v3, 0x4f7ffffe, v3
	v_cvt_u32_f32_e32 v3, v3
	v_mul_lo_u32 v14, s4, v3
	v_mul_hi_u32 v14, v3, v14
	v_add_u32_e32 v3, v3, v14
	v_mul_hi_u32 v3, v24, v3
	v_mul_lo_u32 v14, v3, s44
	v_add_u32_e32 v15, 1, v3
	v_sub_u32_e32 v14, v24, v14
	v_subrev_u32_e32 v26, s44, v14
	v_cmp_le_u32_e32 vcc, s44, v14
	v_cndmask_b32_e32 v14, v14, v26, vcc
	v_cndmask_b32_e32 v3, v3, v15, vcc
	v_add_u32_e32 v15, 1, v3
	v_cmp_le_u32_e32 vcc, s44, v14
	v_cndmask_b32_e32 v14, v3, v15, vcc
	v_mov_b32_e32 v15, v2
.LBB6_49:                               ;   in Loop: Header=BB6_44 Depth=2
	s_or_b64 exec, exec, s[2:3]
	v_mul_lo_u32 v3, v15, s44
	v_mul_lo_u32 v28, v14, s45
	v_mad_u64_u32 v[26:27], s[2:3], v14, s44, 0
	v_add_co_u32_e32 v14, vcc, v14, v12
	v_addc_co_u32_e32 v15, vcc, v15, v13, vcc
	v_add3_u32 v3, v27, v28, v3
	v_mul_lo_u32 v27, v15, s22
	v_mul_lo_u32 v28, v14, s23
	v_mad_u64_u32 v[14:15], s[2:3], v14, s22, 0
	v_sub_co_u32_e32 v24, vcc, v24, v26
	v_subb_co_u32_e32 v25, vcc, v25, v3, vcc
	v_cmp_eq_u64_e64 s[2:3], 0, v[24:25]
	v_add3_u32 v15, v15, v28, v27
	v_mov_b32_e32 v25, v7
	v_mov_b32_e32 v27, v9
	s_mov_b64 s[66:67], 0
	v_mov_b32_e32 v24, v6
	v_mov_b32_e32 v26, v8
                                        ; implicit-def: $sgpr68_sgpr69
	s_branch .LBB6_52
.LBB6_50:                               ;   in Loop: Header=BB6_52 Depth=3
	s_or_b64 exec, exec, s[4:5]
	s_andn2_b64 s[4:5], s[62:63], exec
	s_and_b64 s[62:63], s[72:73], exec
	s_or_b64 s[62:63], s[4:5], s[62:63]
.LBB6_51:                               ;   in Loop: Header=BB6_52 Depth=3
	s_or_b64 exec, exec, s[70:71]
	v_add_co_u32_e32 v26, vcc, 1, v26
	v_addc_co_u32_e32 v27, vcc, 0, v27, vcc
	v_cmp_ge_i64_e32 vcc, v[26:27], v[20:21]
	v_mov_b32_e32 v3, s43
	v_subrev_co_u32_e64 v24, s[4:5], s42, v24
	v_subb_co_u32_e64 v25, s[4:5], v25, v3, s[4:5]
	s_or_b64 s[66:67], vcc, s[66:67]
	s_andn2_b64 s[4:5], s[68:69], exec
	s_and_b64 s[68:69], s[62:63], exec
	s_or_b64 s[68:69], s[4:5], s[68:69]
	s_andn2_b64 exec, exec, s[66:67]
	s_cbranch_execz .LBB6_42
.LBB6_52:                               ;   Parent Loop BB6_4 Depth=1
                                        ;     Parent Loop BB6_44 Depth=2
                                        ; =>    This Inner Loop Header: Depth=3
	s_and_saveexec_b64 s[70:71], s[2:3]
	s_cbranch_execz .LBB6_51
; %bb.53:                               ;   in Loop: Header=BB6_52 Depth=3
	v_or_b32_e32 v3, s47, v25
	v_cmp_ne_u64_e32 vcc, 0, v[2:3]
                                        ; implicit-def: $vgpr28_vgpr29
	s_and_saveexec_b64 s[4:5], vcc
	s_xor_b64 s[72:73], exec, s[4:5]
	s_cbranch_execz .LBB6_55
; %bb.54:                               ;   in Loop: Header=BB6_52 Depth=3
	s_ashr_i32 s74, s47, 31
	s_add_u32 s4, s46, s74
	s_mov_b32 s75, s74
	s_addc_u32 s5, s47, s74
	s_xor_b64 s[76:77], s[4:5], s[74:75]
	v_cvt_f32_u32_e32 v3, s76
	v_cvt_f32_u32_e32 v28, s77
	s_sub_u32 s75, 0, s76
	s_subb_u32 s80, 0, s77
	v_mac_f32_e32 v3, 0x4f800000, v28
	v_rcp_f32_e32 v3, v3
	v_mul_f32_e32 v3, 0x5f7ffffc, v3
	v_mul_f32_e32 v28, 0x2f800000, v3
	v_trunc_f32_e32 v28, v28
	v_mac_f32_e32 v3, 0xcf800000, v28
	v_cvt_u32_f32_e32 v28, v28
	v_cvt_u32_f32_e32 v3, v3
	v_readfirstlane_b32 s81, v28
	v_readfirstlane_b32 s4, v3
	s_mul_i32 s5, s75, s81
	s_mul_hi_u32 s83, s75, s4
	s_mul_i32 s82, s80, s4
	s_add_i32 s5, s83, s5
	s_add_i32 s5, s5, s82
	s_mul_i32 s84, s75, s4
	s_mul_i32 s83, s4, s5
	s_mul_hi_u32 s85, s4, s84
	s_mul_hi_u32 s82, s4, s5
	s_add_u32 s83, s85, s83
	s_addc_u32 s82, 0, s82
	s_mul_hi_u32 s86, s81, s84
	s_mul_i32 s84, s81, s84
	s_add_u32 s83, s83, s84
	s_mul_hi_u32 s85, s81, s5
	s_addc_u32 s82, s82, s86
	s_addc_u32 s83, s85, 0
	s_mul_i32 s5, s81, s5
	s_add_u32 s5, s82, s5
	s_addc_u32 s82, 0, s83
	s_add_u32 s83, s4, s5
	s_cselect_b64 s[4:5], -1, 0
	s_cmp_lg_u64 s[4:5], 0
	s_addc_u32 s81, s81, s82
	s_mul_i32 s4, s75, s81
	s_mul_hi_u32 s5, s75, s83
	s_add_i32 s4, s5, s4
	s_mul_i32 s80, s80, s83
	s_add_i32 s4, s4, s80
	s_mul_i32 s75, s75, s83
	s_mul_hi_u32 s80, s81, s75
	s_mul_i32 s82, s81, s75
	s_mul_i32 s85, s83, s4
	s_mul_hi_u32 s75, s83, s75
	s_mul_hi_u32 s84, s83, s4
	s_add_u32 s75, s75, s85
	s_addc_u32 s84, 0, s84
	s_add_u32 s75, s75, s82
	s_mul_hi_u32 s5, s81, s4
	s_addc_u32 s75, s84, s80
	s_addc_u32 s5, s5, 0
	s_mul_i32 s4, s81, s4
	s_add_u32 s4, s75, s4
	s_addc_u32 s75, 0, s5
	s_add_u32 s80, s83, s4
	s_cselect_b64 s[4:5], -1, 0
	v_ashrrev_i32_e32 v3, 31, v25
	s_cmp_lg_u64 s[4:5], 0
	v_add_co_u32_e32 v28, vcc, v24, v3
	s_addc_u32 s75, s81, s75
	v_xor_b32_e32 v34, v28, v3
	v_mad_u64_u32 v[28:29], s[4:5], v34, s75, 0
	v_mul_hi_u32 v33, v34, s80
	v_addc_co_u32_e32 v32, vcc, v25, v3, vcc
	v_xor_b32_e32 v35, v32, v3
	v_add_co_u32_e32 v36, vcc, v33, v28
	v_addc_co_u32_e32 v37, vcc, 0, v29, vcc
	v_mad_u64_u32 v[28:29], s[4:5], v35, s80, 0
	v_mad_u64_u32 v[32:33], s[4:5], v35, s75, 0
	v_add_co_u32_e32 v28, vcc, v36, v28
	v_addc_co_u32_e32 v28, vcc, v37, v29, vcc
	v_addc_co_u32_e32 v29, vcc, 0, v33, vcc
	v_add_co_u32_e32 v32, vcc, v28, v32
	v_addc_co_u32_e32 v33, vcc, 0, v29, vcc
	v_mul_lo_u32 v36, s77, v32
	v_mul_lo_u32 v37, s76, v33
	v_mad_u64_u32 v[28:29], s[4:5], s76, v32, 0
	v_xor_b32_e32 v3, s74, v3
	v_add3_u32 v29, v29, v37, v36
	v_sub_u32_e32 v36, v35, v29
	v_mov_b32_e32 v37, s77
	v_sub_co_u32_e32 v28, vcc, v34, v28
	v_subb_co_u32_e64 v34, s[4:5], v36, v37, vcc
	v_subrev_co_u32_e64 v36, s[4:5], s76, v28
	v_subbrev_co_u32_e64 v34, s[4:5], 0, v34, s[4:5]
	v_cmp_le_u32_e64 s[4:5], s77, v34
	v_cndmask_b32_e64 v37, 0, -1, s[4:5]
	v_cmp_le_u32_e64 s[4:5], s76, v36
	v_cndmask_b32_e64 v36, 0, -1, s[4:5]
	v_cmp_eq_u32_e64 s[4:5], s77, v34
	v_cndmask_b32_e64 v34, v37, v36, s[4:5]
	v_add_co_u32_e64 v36, s[4:5], 2, v32
	v_subb_co_u32_e32 v29, vcc, v35, v29, vcc
	v_addc_co_u32_e64 v37, s[4:5], 0, v33, s[4:5]
	v_cmp_le_u32_e32 vcc, s77, v29
	v_add_co_u32_e64 v38, s[4:5], 1, v32
	v_cndmask_b32_e64 v35, 0, -1, vcc
	v_cmp_le_u32_e32 vcc, s76, v28
	v_addc_co_u32_e64 v39, s[4:5], 0, v33, s[4:5]
	v_cndmask_b32_e64 v28, 0, -1, vcc
	v_cmp_eq_u32_e32 vcc, s77, v29
	v_cmp_ne_u32_e64 s[4:5], 0, v34
	v_cndmask_b32_e32 v28, v35, v28, vcc
	v_cndmask_b32_e64 v34, v39, v37, s[4:5]
	v_cmp_ne_u32_e32 vcc, 0, v28
	v_cndmask_b32_e64 v29, v38, v36, s[4:5]
	v_cndmask_b32_e32 v28, v33, v34, vcc
	v_cndmask_b32_e32 v29, v32, v29, vcc
	v_xor_b32_e32 v32, v28, v3
	v_xor_b32_e32 v28, v29, v3
	v_sub_co_u32_e32 v28, vcc, v28, v3
	v_subb_co_u32_e32 v29, vcc, v32, v3, vcc
.LBB6_55:                               ;   in Loop: Header=BB6_52 Depth=3
	s_andn2_saveexec_b64 s[4:5], s[72:73]
	s_cbranch_execz .LBB6_57
; %bb.56:                               ;   in Loop: Header=BB6_52 Depth=3
	v_cvt_f32_u32_e32 v3, s46
	s_sub_i32 s72, 0, s46
	v_rcp_iflag_f32_e32 v3, v3
	v_mul_f32_e32 v3, 0x4f7ffffe, v3
	v_cvt_u32_f32_e32 v3, v3
	v_mul_lo_u32 v28, s72, v3
	v_mul_hi_u32 v28, v3, v28
	v_add_u32_e32 v3, v3, v28
	v_mul_hi_u32 v3, v24, v3
	v_mul_lo_u32 v28, v3, s46
	v_add_u32_e32 v29, 1, v3
	v_sub_u32_e32 v28, v24, v28
	v_subrev_u32_e32 v32, s46, v28
	v_cmp_le_u32_e32 vcc, s46, v28
	v_cndmask_b32_e32 v28, v28, v32, vcc
	v_cndmask_b32_e32 v3, v3, v29, vcc
	v_add_u32_e32 v29, 1, v3
	v_cmp_le_u32_e32 vcc, s46, v28
	v_cndmask_b32_e32 v28, v3, v29, vcc
	v_mov_b32_e32 v29, v2
.LBB6_57:                               ;   in Loop: Header=BB6_52 Depth=3
	s_or_b64 exec, exec, s[4:5]
	v_mul_lo_u32 v3, v29, s46
	v_mul_lo_u32 v34, v28, s47
	v_mad_u64_u32 v[32:33], s[4:5], v28, s46, 0
	s_mov_b64 s[72:73], s[62:63]
	v_add3_u32 v3, v33, v34, v3
	v_sub_co_u32_e32 v32, vcc, v24, v32
	v_subb_co_u32_e32 v33, vcc, v25, v3, vcc
	v_cmp_eq_u64_e32 vcc, 0, v[32:33]
	s_and_saveexec_b64 s[4:5], vcc
	s_cbranch_execz .LBB6_50
; %bb.58:                               ;   in Loop: Header=BB6_52 Depth=3
	v_add_co_u32_e32 v3, vcc, v14, v28
	v_addc_co_u32_e32 v28, vcc, v15, v29, vcc
	v_mul_lo_u32 v32, v3, s49
	v_mul_lo_u32 v33, v28, s48
	v_mad_u64_u32 v[28:29], s[72:73], v3, s48, v[16:17]
	v_add3_u32 v3, v33, v29, v32
	v_mul_lo_u32 v3, s50, v3
	v_mul_lo_u32 v32, s51, v28
	v_mad_u64_u32 v[28:29], s[72:73], s50, v28, v[26:27]
	s_andn2_b64 s[72:73], s[62:63], exec
	v_add3_u32 v3, v32, v29, v3
	v_add_co_u32_e32 v28, vcc, v22, v28
	v_addc_co_u32_e32 v29, vcc, v23, v3, vcc
	global_load_ubyte v3, v[28:29], off
	v_cndmask_b32_e64 v28, 0, 1, s[62:63]
	s_waitcnt vmcnt(0)
	v_or_b32_e32 v3, v3, v28
	v_cmp_ne_u16_e32 vcc, 0, v3
	s_and_b64 s[74:75], vcc, exec
	s_or_b64 s[72:73], s[72:73], s[74:75]
	s_branch .LBB6_50
.LBB6_59:
	s_endpgm
	.section	.rodata,"a",@progbits
	.p2align	6, 0x0
	.amdhsa_kernel _ZN2at6native21col2im_batched_kernelIbEEvlPKT_llllllllllllllPS2_l
		.amdhsa_group_segment_fixed_size 0
		.amdhsa_private_segment_fixed_size 0
		.amdhsa_kernarg_size 400
		.amdhsa_user_sgpr_count 6
		.amdhsa_user_sgpr_private_segment_buffer 1
		.amdhsa_user_sgpr_dispatch_ptr 0
		.amdhsa_user_sgpr_queue_ptr 0
		.amdhsa_user_sgpr_kernarg_segment_ptr 1
		.amdhsa_user_sgpr_dispatch_id 0
		.amdhsa_user_sgpr_flat_scratch_init 0
		.amdhsa_user_sgpr_private_segment_size 0
		.amdhsa_uses_dynamic_stack 0
		.amdhsa_system_sgpr_private_segment_wavefront_offset 0
		.amdhsa_system_sgpr_workgroup_id_x 1
		.amdhsa_system_sgpr_workgroup_id_y 0
		.amdhsa_system_sgpr_workgroup_id_z 0
		.amdhsa_system_sgpr_workgroup_info 0
		.amdhsa_system_vgpr_workitem_id 0
		.amdhsa_next_free_vgpr 40
		.amdhsa_next_free_sgpr 87
		.amdhsa_reserve_vcc 1
		.amdhsa_reserve_flat_scratch 0
		.amdhsa_float_round_mode_32 0
		.amdhsa_float_round_mode_16_64 0
		.amdhsa_float_denorm_mode_32 3
		.amdhsa_float_denorm_mode_16_64 3
		.amdhsa_dx10_clamp 1
		.amdhsa_ieee_mode 1
		.amdhsa_fp16_overflow 0
		.amdhsa_exception_fp_ieee_invalid_op 0
		.amdhsa_exception_fp_denorm_src 0
		.amdhsa_exception_fp_ieee_div_zero 0
		.amdhsa_exception_fp_ieee_overflow 0
		.amdhsa_exception_fp_ieee_underflow 0
		.amdhsa_exception_fp_ieee_inexact 0
		.amdhsa_exception_int_div_zero 0
	.end_amdhsa_kernel
	.section	.text._ZN2at6native21col2im_batched_kernelIbEEvlPKT_llllllllllllllPS2_l,"axG",@progbits,_ZN2at6native21col2im_batched_kernelIbEEvlPKT_llllllllllllllPS2_l,comdat
.Lfunc_end6:
	.size	_ZN2at6native21col2im_batched_kernelIbEEvlPKT_llllllllllllllPS2_l, .Lfunc_end6-_ZN2at6native21col2im_batched_kernelIbEEvlPKT_llllllllllllllPS2_l
                                        ; -- End function
	.set _ZN2at6native21col2im_batched_kernelIbEEvlPKT_llllllllllllllPS2_l.num_vgpr, 40
	.set _ZN2at6native21col2im_batched_kernelIbEEvlPKT_llllllllllllllPS2_l.num_agpr, 0
	.set _ZN2at6native21col2im_batched_kernelIbEEvlPKT_llllllllllllllPS2_l.numbered_sgpr, 87
	.set _ZN2at6native21col2im_batched_kernelIbEEvlPKT_llllllllllllllPS2_l.num_named_barrier, 0
	.set _ZN2at6native21col2im_batched_kernelIbEEvlPKT_llllllllllllllPS2_l.private_seg_size, 0
	.set _ZN2at6native21col2im_batched_kernelIbEEvlPKT_llllllllllllllPS2_l.uses_vcc, 1
	.set _ZN2at6native21col2im_batched_kernelIbEEvlPKT_llllllllllllllPS2_l.uses_flat_scratch, 0
	.set _ZN2at6native21col2im_batched_kernelIbEEvlPKT_llllllllllllllPS2_l.has_dyn_sized_stack, 0
	.set _ZN2at6native21col2im_batched_kernelIbEEvlPKT_llllllllllllllPS2_l.has_recursion, 0
	.set _ZN2at6native21col2im_batched_kernelIbEEvlPKT_llllllllllllllPS2_l.has_indirect_call, 0
	.section	.AMDGPU.csdata,"",@progbits
; Kernel info:
; codeLenInByte = 8592
; TotalNumSgprs: 91
; NumVgprs: 40
; ScratchSize: 0
; MemoryBound: 0
; FloatMode: 240
; IeeeMode: 1
; LDSByteSize: 0 bytes/workgroup (compile time only)
; SGPRBlocks: 11
; VGPRBlocks: 9
; NumSGPRsForWavesPerEU: 91
; NumVGPRsForWavesPerEU: 40
; Occupancy: 6
; WaveLimiterHint : 0
; COMPUTE_PGM_RSRC2:SCRATCH_EN: 0
; COMPUTE_PGM_RSRC2:USER_SGPR: 6
; COMPUTE_PGM_RSRC2:TRAP_HANDLER: 0
; COMPUTE_PGM_RSRC2:TGID_X_EN: 1
; COMPUTE_PGM_RSRC2:TGID_Y_EN: 0
; COMPUTE_PGM_RSRC2:TGID_Z_EN: 0
; COMPUTE_PGM_RSRC2:TIDIG_COMP_CNT: 0
	.section	.AMDGPU.gpr_maximums,"",@progbits
	.set amdgpu.max_num_vgpr, 0
	.set amdgpu.max_num_agpr, 0
	.set amdgpu.max_num_sgpr, 0
	.section	.AMDGPU.csdata,"",@progbits
	.type	__hip_cuid_143d68b39f30c94a,@object ; @__hip_cuid_143d68b39f30c94a
	.section	.bss,"aw",@nobits
	.globl	__hip_cuid_143d68b39f30c94a
__hip_cuid_143d68b39f30c94a:
	.byte	0                               ; 0x0
	.size	__hip_cuid_143d68b39f30c94a, 1

	.ident	"AMD clang version 22.0.0git (https://github.com/RadeonOpenCompute/llvm-project roc-7.2.4 26084 f58b06dce1f9c15707c5f808fd002e18c2accf7e)"
	.section	".note.GNU-stack","",@progbits
	.addrsig
	.addrsig_sym __hip_cuid_143d68b39f30c94a
	.amdgpu_metadata
---
amdhsa.kernels:
  - .args:
      - .offset:         0
        .size:           8
        .value_kind:     by_value
      - .address_space:  global
        .offset:         8
        .size:           8
        .value_kind:     global_buffer
      - .offset:         16
        .size:           8
        .value_kind:     by_value
      - .offset:         24
        .size:           8
        .value_kind:     by_value
      - .offset:         32
        .size:           8
        .value_kind:     by_value
      - .offset:         40
        .size:           8
        .value_kind:     by_value
      - .offset:         48
        .size:           8
        .value_kind:     by_value
      - .offset:         56
        .size:           8
        .value_kind:     by_value
      - .offset:         64
        .size:           8
        .value_kind:     by_value
      - .offset:         72
        .size:           8
        .value_kind:     by_value
      - .offset:         80
        .size:           8
        .value_kind:     by_value
      - .offset:         88
        .size:           8
        .value_kind:     by_value
      - .offset:         96
        .size:           8
        .value_kind:     by_value
      - .offset:         104
        .size:           8
        .value_kind:     by_value
      - .offset:         112
        .size:           8
        .value_kind:     by_value
      - .offset:         120
        .size:           8
        .value_kind:     by_value
      - .address_space:  global
        .offset:         128
        .size:           8
        .value_kind:     global_buffer
      - .offset:         136
        .size:           8
        .value_kind:     by_value
      - .offset:         144
        .size:           4
        .value_kind:     hidden_block_count_x
      - .offset:         148
        .size:           4
        .value_kind:     hidden_block_count_y
      - .offset:         152
        .size:           4
        .value_kind:     hidden_block_count_z
      - .offset:         156
        .size:           2
        .value_kind:     hidden_group_size_x
      - .offset:         158
        .size:           2
        .value_kind:     hidden_group_size_y
      - .offset:         160
        .size:           2
        .value_kind:     hidden_group_size_z
      - .offset:         162
        .size:           2
        .value_kind:     hidden_remainder_x
      - .offset:         164
        .size:           2
        .value_kind:     hidden_remainder_y
      - .offset:         166
        .size:           2
        .value_kind:     hidden_remainder_z
      - .offset:         184
        .size:           8
        .value_kind:     hidden_global_offset_x
      - .offset:         192
        .size:           8
        .value_kind:     hidden_global_offset_y
      - .offset:         200
        .size:           8
        .value_kind:     hidden_global_offset_z
      - .offset:         208
        .size:           2
        .value_kind:     hidden_grid_dims
    .group_segment_fixed_size: 0
    .kernarg_segment_align: 8
    .kernarg_segment_size: 400
    .language:       OpenCL C
    .language_version:
      - 2
      - 0
    .max_flat_workgroup_size: 512
    .name:           _ZN2at6native21col2im_batched_kernelIdEEvlPKT_llllllllllllllPS2_l
    .private_segment_fixed_size: 0
    .sgpr_count:     85
    .sgpr_spill_count: 0
    .symbol:         _ZN2at6native21col2im_batched_kernelIdEEvlPKT_llllllllllllllPS2_l.kd
    .uniform_work_group_size: 1
    .uses_dynamic_stack: false
    .vgpr_count:     44
    .vgpr_spill_count: 0
    .wavefront_size: 64
  - .args:
      - .offset:         0
        .size:           8
        .value_kind:     by_value
      - .address_space:  global
        .offset:         8
        .size:           8
        .value_kind:     global_buffer
      - .offset:         16
        .size:           8
        .value_kind:     by_value
      - .offset:         24
        .size:           8
        .value_kind:     by_value
      - .offset:         32
        .size:           8
        .value_kind:     by_value
      - .offset:         40
        .size:           8
        .value_kind:     by_value
      - .offset:         48
        .size:           8
        .value_kind:     by_value
      - .offset:         56
        .size:           8
        .value_kind:     by_value
      - .offset:         64
        .size:           8
        .value_kind:     by_value
      - .offset:         72
        .size:           8
        .value_kind:     by_value
      - .offset:         80
        .size:           8
        .value_kind:     by_value
      - .offset:         88
        .size:           8
        .value_kind:     by_value
      - .offset:         96
        .size:           8
        .value_kind:     by_value
      - .offset:         104
        .size:           8
        .value_kind:     by_value
      - .offset:         112
        .size:           8
        .value_kind:     by_value
      - .offset:         120
        .size:           8
        .value_kind:     by_value
      - .address_space:  global
        .offset:         128
        .size:           8
        .value_kind:     global_buffer
      - .offset:         136
        .size:           8
        .value_kind:     by_value
      - .offset:         144
        .size:           4
        .value_kind:     hidden_block_count_x
      - .offset:         148
        .size:           4
        .value_kind:     hidden_block_count_y
      - .offset:         152
        .size:           4
        .value_kind:     hidden_block_count_z
      - .offset:         156
        .size:           2
        .value_kind:     hidden_group_size_x
      - .offset:         158
        .size:           2
        .value_kind:     hidden_group_size_y
      - .offset:         160
        .size:           2
        .value_kind:     hidden_group_size_z
      - .offset:         162
        .size:           2
        .value_kind:     hidden_remainder_x
      - .offset:         164
        .size:           2
        .value_kind:     hidden_remainder_y
      - .offset:         166
        .size:           2
        .value_kind:     hidden_remainder_z
      - .offset:         184
        .size:           8
        .value_kind:     hidden_global_offset_x
      - .offset:         192
        .size:           8
        .value_kind:     hidden_global_offset_y
      - .offset:         200
        .size:           8
        .value_kind:     hidden_global_offset_z
      - .offset:         208
        .size:           2
        .value_kind:     hidden_grid_dims
    .group_segment_fixed_size: 0
    .kernarg_segment_align: 8
    .kernarg_segment_size: 400
    .language:       OpenCL C
    .language_version:
      - 2
      - 0
    .max_flat_workgroup_size: 512
    .name:           _ZN2at6native21col2im_batched_kernelIfEEvlPKT_llllllllllllllPS2_l
    .private_segment_fixed_size: 0
    .sgpr_count:     85
    .sgpr_spill_count: 0
    .symbol:         _ZN2at6native21col2im_batched_kernelIfEEvlPKT_llllllllllllllPS2_l.kd
    .uniform_work_group_size: 1
    .uses_dynamic_stack: false
    .vgpr_count:     43
    .vgpr_spill_count: 0
    .wavefront_size: 64
  - .args:
      - .offset:         0
        .size:           8
        .value_kind:     by_value
      - .address_space:  global
        .offset:         8
        .size:           8
        .value_kind:     global_buffer
      - .offset:         16
        .size:           8
        .value_kind:     by_value
      - .offset:         24
        .size:           8
        .value_kind:     by_value
      - .offset:         32
        .size:           8
        .value_kind:     by_value
      - .offset:         40
        .size:           8
        .value_kind:     by_value
      - .offset:         48
        .size:           8
        .value_kind:     by_value
      - .offset:         56
        .size:           8
        .value_kind:     by_value
      - .offset:         64
        .size:           8
        .value_kind:     by_value
      - .offset:         72
        .size:           8
        .value_kind:     by_value
      - .offset:         80
        .size:           8
        .value_kind:     by_value
      - .offset:         88
        .size:           8
        .value_kind:     by_value
      - .offset:         96
        .size:           8
        .value_kind:     by_value
      - .offset:         104
        .size:           8
        .value_kind:     by_value
      - .offset:         112
        .size:           8
        .value_kind:     by_value
      - .offset:         120
        .size:           8
        .value_kind:     by_value
      - .address_space:  global
        .offset:         128
        .size:           8
        .value_kind:     global_buffer
      - .offset:         136
        .size:           8
        .value_kind:     by_value
      - .offset:         144
        .size:           4
        .value_kind:     hidden_block_count_x
      - .offset:         148
        .size:           4
        .value_kind:     hidden_block_count_y
      - .offset:         152
        .size:           4
        .value_kind:     hidden_block_count_z
      - .offset:         156
        .size:           2
        .value_kind:     hidden_group_size_x
      - .offset:         158
        .size:           2
        .value_kind:     hidden_group_size_y
      - .offset:         160
        .size:           2
        .value_kind:     hidden_group_size_z
      - .offset:         162
        .size:           2
        .value_kind:     hidden_remainder_x
      - .offset:         164
        .size:           2
        .value_kind:     hidden_remainder_y
      - .offset:         166
        .size:           2
        .value_kind:     hidden_remainder_z
      - .offset:         184
        .size:           8
        .value_kind:     hidden_global_offset_x
      - .offset:         192
        .size:           8
        .value_kind:     hidden_global_offset_y
      - .offset:         200
        .size:           8
        .value_kind:     hidden_global_offset_z
      - .offset:         208
        .size:           2
        .value_kind:     hidden_grid_dims
    .group_segment_fixed_size: 0
    .kernarg_segment_align: 8
    .kernarg_segment_size: 400
    .language:       OpenCL C
    .language_version:
      - 2
      - 0
    .max_flat_workgroup_size: 512
    .name:           _ZN2at6native21col2im_batched_kernelIN3c107complexIdEEEEvlPKT_llllllllllllllPS5_l
    .private_segment_fixed_size: 0
    .sgpr_count:     85
    .sgpr_spill_count: 0
    .symbol:         _ZN2at6native21col2im_batched_kernelIN3c107complexIdEEEEvlPKT_llllllllllllllPS5_l.kd
    .uniform_work_group_size: 1
    .uses_dynamic_stack: false
    .vgpr_count:     46
    .vgpr_spill_count: 0
    .wavefront_size: 64
  - .args:
      - .offset:         0
        .size:           8
        .value_kind:     by_value
      - .address_space:  global
        .offset:         8
        .size:           8
        .value_kind:     global_buffer
      - .offset:         16
        .size:           8
        .value_kind:     by_value
      - .offset:         24
        .size:           8
        .value_kind:     by_value
      - .offset:         32
        .size:           8
        .value_kind:     by_value
      - .offset:         40
        .size:           8
        .value_kind:     by_value
      - .offset:         48
        .size:           8
        .value_kind:     by_value
      - .offset:         56
        .size:           8
        .value_kind:     by_value
      - .offset:         64
        .size:           8
        .value_kind:     by_value
      - .offset:         72
        .size:           8
        .value_kind:     by_value
      - .offset:         80
        .size:           8
        .value_kind:     by_value
      - .offset:         88
        .size:           8
        .value_kind:     by_value
      - .offset:         96
        .size:           8
        .value_kind:     by_value
      - .offset:         104
        .size:           8
        .value_kind:     by_value
      - .offset:         112
        .size:           8
        .value_kind:     by_value
      - .offset:         120
        .size:           8
        .value_kind:     by_value
      - .address_space:  global
        .offset:         128
        .size:           8
        .value_kind:     global_buffer
      - .offset:         136
        .size:           8
        .value_kind:     by_value
      - .offset:         144
        .size:           4
        .value_kind:     hidden_block_count_x
      - .offset:         148
        .size:           4
        .value_kind:     hidden_block_count_y
      - .offset:         152
        .size:           4
        .value_kind:     hidden_block_count_z
      - .offset:         156
        .size:           2
        .value_kind:     hidden_group_size_x
      - .offset:         158
        .size:           2
        .value_kind:     hidden_group_size_y
      - .offset:         160
        .size:           2
        .value_kind:     hidden_group_size_z
      - .offset:         162
        .size:           2
        .value_kind:     hidden_remainder_x
      - .offset:         164
        .size:           2
        .value_kind:     hidden_remainder_y
      - .offset:         166
        .size:           2
        .value_kind:     hidden_remainder_z
      - .offset:         184
        .size:           8
        .value_kind:     hidden_global_offset_x
      - .offset:         192
        .size:           8
        .value_kind:     hidden_global_offset_y
      - .offset:         200
        .size:           8
        .value_kind:     hidden_global_offset_z
      - .offset:         208
        .size:           2
        .value_kind:     hidden_grid_dims
    .group_segment_fixed_size: 0
    .kernarg_segment_align: 8
    .kernarg_segment_size: 400
    .language:       OpenCL C
    .language_version:
      - 2
      - 0
    .max_flat_workgroup_size: 512
    .name:           _ZN2at6native21col2im_batched_kernelIN3c107complexIfEEEEvlPKT_llllllllllllllPS5_l
    .private_segment_fixed_size: 0
    .sgpr_count:     85
    .sgpr_spill_count: 0
    .symbol:         _ZN2at6native21col2im_batched_kernelIN3c107complexIfEEEEvlPKT_llllllllllllllPS5_l.kd
    .uniform_work_group_size: 1
    .uses_dynamic_stack: false
    .vgpr_count:     44
    .vgpr_spill_count: 0
    .wavefront_size: 64
  - .args:
      - .offset:         0
        .size:           8
        .value_kind:     by_value
      - .address_space:  global
        .offset:         8
        .size:           8
        .value_kind:     global_buffer
      - .offset:         16
        .size:           8
        .value_kind:     by_value
      - .offset:         24
        .size:           8
        .value_kind:     by_value
      - .offset:         32
        .size:           8
        .value_kind:     by_value
      - .offset:         40
        .size:           8
        .value_kind:     by_value
      - .offset:         48
        .size:           8
        .value_kind:     by_value
      - .offset:         56
        .size:           8
        .value_kind:     by_value
      - .offset:         64
        .size:           8
        .value_kind:     by_value
      - .offset:         72
        .size:           8
        .value_kind:     by_value
      - .offset:         80
        .size:           8
        .value_kind:     by_value
      - .offset:         88
        .size:           8
        .value_kind:     by_value
      - .offset:         96
        .size:           8
        .value_kind:     by_value
      - .offset:         104
        .size:           8
        .value_kind:     by_value
      - .offset:         112
        .size:           8
        .value_kind:     by_value
      - .offset:         120
        .size:           8
        .value_kind:     by_value
      - .address_space:  global
        .offset:         128
        .size:           8
        .value_kind:     global_buffer
      - .offset:         136
        .size:           8
        .value_kind:     by_value
      - .offset:         144
        .size:           4
        .value_kind:     hidden_block_count_x
      - .offset:         148
        .size:           4
        .value_kind:     hidden_block_count_y
      - .offset:         152
        .size:           4
        .value_kind:     hidden_block_count_z
      - .offset:         156
        .size:           2
        .value_kind:     hidden_group_size_x
      - .offset:         158
        .size:           2
        .value_kind:     hidden_group_size_y
      - .offset:         160
        .size:           2
        .value_kind:     hidden_group_size_z
      - .offset:         162
        .size:           2
        .value_kind:     hidden_remainder_x
      - .offset:         164
        .size:           2
        .value_kind:     hidden_remainder_y
      - .offset:         166
        .size:           2
        .value_kind:     hidden_remainder_z
      - .offset:         184
        .size:           8
        .value_kind:     hidden_global_offset_x
      - .offset:         192
        .size:           8
        .value_kind:     hidden_global_offset_y
      - .offset:         200
        .size:           8
        .value_kind:     hidden_global_offset_z
      - .offset:         208
        .size:           2
        .value_kind:     hidden_grid_dims
    .group_segment_fixed_size: 0
    .kernarg_segment_align: 8
    .kernarg_segment_size: 400
    .language:       OpenCL C
    .language_version:
      - 2
      - 0
    .max_flat_workgroup_size: 512
    .name:           _ZN2at6native21col2im_batched_kernelIN3c104HalfEEEvlPKT_llllllllllllllPS4_l
    .private_segment_fixed_size: 0
    .sgpr_count:     85
    .sgpr_spill_count: 0
    .symbol:         _ZN2at6native21col2im_batched_kernelIN3c104HalfEEEvlPKT_llllllllllllllPS4_l.kd
    .uniform_work_group_size: 1
    .uses_dynamic_stack: false
    .vgpr_count:     43
    .vgpr_spill_count: 0
    .wavefront_size: 64
  - .args:
      - .offset:         0
        .size:           8
        .value_kind:     by_value
      - .address_space:  global
        .offset:         8
        .size:           8
        .value_kind:     global_buffer
      - .offset:         16
        .size:           8
        .value_kind:     by_value
      - .offset:         24
        .size:           8
        .value_kind:     by_value
      - .offset:         32
        .size:           8
        .value_kind:     by_value
      - .offset:         40
        .size:           8
        .value_kind:     by_value
      - .offset:         48
        .size:           8
        .value_kind:     by_value
      - .offset:         56
        .size:           8
        .value_kind:     by_value
      - .offset:         64
        .size:           8
        .value_kind:     by_value
      - .offset:         72
        .size:           8
        .value_kind:     by_value
      - .offset:         80
        .size:           8
        .value_kind:     by_value
      - .offset:         88
        .size:           8
        .value_kind:     by_value
      - .offset:         96
        .size:           8
        .value_kind:     by_value
      - .offset:         104
        .size:           8
        .value_kind:     by_value
      - .offset:         112
        .size:           8
        .value_kind:     by_value
      - .offset:         120
        .size:           8
        .value_kind:     by_value
      - .address_space:  global
        .offset:         128
        .size:           8
        .value_kind:     global_buffer
      - .offset:         136
        .size:           8
        .value_kind:     by_value
      - .offset:         144
        .size:           4
        .value_kind:     hidden_block_count_x
      - .offset:         148
        .size:           4
        .value_kind:     hidden_block_count_y
      - .offset:         152
        .size:           4
        .value_kind:     hidden_block_count_z
      - .offset:         156
        .size:           2
        .value_kind:     hidden_group_size_x
      - .offset:         158
        .size:           2
        .value_kind:     hidden_group_size_y
      - .offset:         160
        .size:           2
        .value_kind:     hidden_group_size_z
      - .offset:         162
        .size:           2
        .value_kind:     hidden_remainder_x
      - .offset:         164
        .size:           2
        .value_kind:     hidden_remainder_y
      - .offset:         166
        .size:           2
        .value_kind:     hidden_remainder_z
      - .offset:         184
        .size:           8
        .value_kind:     hidden_global_offset_x
      - .offset:         192
        .size:           8
        .value_kind:     hidden_global_offset_y
      - .offset:         200
        .size:           8
        .value_kind:     hidden_global_offset_z
      - .offset:         208
        .size:           2
        .value_kind:     hidden_grid_dims
    .group_segment_fixed_size: 0
    .kernarg_segment_align: 8
    .kernarg_segment_size: 400
    .language:       OpenCL C
    .language_version:
      - 2
      - 0
    .max_flat_workgroup_size: 512
    .name:           _ZN2at6native21col2im_batched_kernelIN3c108BFloat16EEEvlPKT_llllllllllllllPS4_l
    .private_segment_fixed_size: 0
    .sgpr_count:     86
    .sgpr_spill_count: 0
    .symbol:         _ZN2at6native21col2im_batched_kernelIN3c108BFloat16EEEvlPKT_llllllllllllllPS4_l.kd
    .uniform_work_group_size: 1
    .uses_dynamic_stack: false
    .vgpr_count:     44
    .vgpr_spill_count: 0
    .wavefront_size: 64
  - .args:
      - .offset:         0
        .size:           8
        .value_kind:     by_value
      - .address_space:  global
        .offset:         8
        .size:           8
        .value_kind:     global_buffer
      - .offset:         16
        .size:           8
        .value_kind:     by_value
      - .offset:         24
        .size:           8
        .value_kind:     by_value
      - .offset:         32
        .size:           8
        .value_kind:     by_value
      - .offset:         40
        .size:           8
        .value_kind:     by_value
      - .offset:         48
        .size:           8
        .value_kind:     by_value
      - .offset:         56
        .size:           8
        .value_kind:     by_value
      - .offset:         64
        .size:           8
        .value_kind:     by_value
      - .offset:         72
        .size:           8
        .value_kind:     by_value
      - .offset:         80
        .size:           8
        .value_kind:     by_value
      - .offset:         88
        .size:           8
        .value_kind:     by_value
      - .offset:         96
        .size:           8
        .value_kind:     by_value
      - .offset:         104
        .size:           8
        .value_kind:     by_value
      - .offset:         112
        .size:           8
        .value_kind:     by_value
      - .offset:         120
        .size:           8
        .value_kind:     by_value
      - .address_space:  global
        .offset:         128
        .size:           8
        .value_kind:     global_buffer
      - .offset:         136
        .size:           8
        .value_kind:     by_value
      - .offset:         144
        .size:           4
        .value_kind:     hidden_block_count_x
      - .offset:         148
        .size:           4
        .value_kind:     hidden_block_count_y
      - .offset:         152
        .size:           4
        .value_kind:     hidden_block_count_z
      - .offset:         156
        .size:           2
        .value_kind:     hidden_group_size_x
      - .offset:         158
        .size:           2
        .value_kind:     hidden_group_size_y
      - .offset:         160
        .size:           2
        .value_kind:     hidden_group_size_z
      - .offset:         162
        .size:           2
        .value_kind:     hidden_remainder_x
      - .offset:         164
        .size:           2
        .value_kind:     hidden_remainder_y
      - .offset:         166
        .size:           2
        .value_kind:     hidden_remainder_z
      - .offset:         184
        .size:           8
        .value_kind:     hidden_global_offset_x
      - .offset:         192
        .size:           8
        .value_kind:     hidden_global_offset_y
      - .offset:         200
        .size:           8
        .value_kind:     hidden_global_offset_z
      - .offset:         208
        .size:           2
        .value_kind:     hidden_grid_dims
    .group_segment_fixed_size: 0
    .kernarg_segment_align: 8
    .kernarg_segment_size: 400
    .language:       OpenCL C
    .language_version:
      - 2
      - 0
    .max_flat_workgroup_size: 512
    .name:           _ZN2at6native21col2im_batched_kernelIbEEvlPKT_llllllllllllllPS2_l
    .private_segment_fixed_size: 0
    .sgpr_count:     91
    .sgpr_spill_count: 0
    .symbol:         _ZN2at6native21col2im_batched_kernelIbEEvlPKT_llllllllllllllPS2_l.kd
    .uniform_work_group_size: 1
    .uses_dynamic_stack: false
    .vgpr_count:     40
    .vgpr_spill_count: 0
    .wavefront_size: 64
amdhsa.target:   amdgcn-amd-amdhsa--gfx906
amdhsa.version:
  - 1
  - 2
...

	.end_amdgpu_metadata
